;; amdgpu-corpus repo=ROCm/rocm-examples kind=compiled arch=gfx950 opt=O3
	.amdgcn_target "amdgcn-amd-amdhsa--gfx950"
	.amdhsa_code_object_version 6
	.text
	.protected	_Z5emptyiPd             ; -- Begin function _Z5emptyiPd
	.globl	_Z5emptyiPd
	.p2align	8
	.type	_Z5emptyiPd,@function
_Z5emptyiPd:                            ; @_Z5emptyiPd
; %bb.0:
	s_endpgm
	.section	.rodata,"a",@progbits
	.p2align	6, 0x0
	.amdhsa_kernel _Z5emptyiPd
		.amdhsa_group_segment_fixed_size 0
		.amdhsa_private_segment_fixed_size 0
		.amdhsa_kernarg_size 16
		.amdhsa_user_sgpr_count 2
		.amdhsa_user_sgpr_dispatch_ptr 0
		.amdhsa_user_sgpr_queue_ptr 0
		.amdhsa_user_sgpr_kernarg_segment_ptr 1
		.amdhsa_user_sgpr_dispatch_id 0
		.amdhsa_user_sgpr_kernarg_preload_length 0
		.amdhsa_user_sgpr_kernarg_preload_offset 0
		.amdhsa_user_sgpr_private_segment_size 0
		.amdhsa_uses_dynamic_stack 0
		.amdhsa_enable_private_segment 0
		.amdhsa_system_sgpr_workgroup_id_x 1
		.amdhsa_system_sgpr_workgroup_id_y 0
		.amdhsa_system_sgpr_workgroup_id_z 0
		.amdhsa_system_sgpr_workgroup_info 0
		.amdhsa_system_vgpr_workitem_id 0
		.amdhsa_next_free_vgpr 1
		.amdhsa_next_free_sgpr 0
		.amdhsa_accum_offset 4
		.amdhsa_reserve_vcc 0
		.amdhsa_float_round_mode_32 0
		.amdhsa_float_round_mode_16_64 0
		.amdhsa_float_denorm_mode_32 3
		.amdhsa_float_denorm_mode_16_64 3
		.amdhsa_dx10_clamp 1
		.amdhsa_ieee_mode 1
		.amdhsa_fp16_overflow 0
		.amdhsa_tg_split 0
		.amdhsa_exception_fp_ieee_invalid_op 0
		.amdhsa_exception_fp_denorm_src 0
		.amdhsa_exception_fp_ieee_div_zero 0
		.amdhsa_exception_fp_ieee_overflow 0
		.amdhsa_exception_fp_ieee_underflow 0
		.amdhsa_exception_fp_ieee_inexact 0
		.amdhsa_exception_int_div_zero 0
	.end_amdhsa_kernel
	.text
.Lfunc_end0:
	.size	_Z5emptyiPd, .Lfunc_end0-_Z5emptyiPd
                                        ; -- End function
	.set _Z5emptyiPd.num_vgpr, 0
	.set _Z5emptyiPd.num_agpr, 0
	.set _Z5emptyiPd.numbered_sgpr, 0
	.set _Z5emptyiPd.num_named_barrier, 0
	.set _Z5emptyiPd.private_seg_size, 0
	.set _Z5emptyiPd.uses_vcc, 0
	.set _Z5emptyiPd.uses_flat_scratch, 0
	.set _Z5emptyiPd.has_dyn_sized_stack, 0
	.set _Z5emptyiPd.has_recursion, 0
	.set _Z5emptyiPd.has_indirect_call, 0
	.section	.AMDGPU.csdata,"",@progbits
; Kernel info:
; codeLenInByte = 4
; TotalNumSgprs: 6
; NumVgprs: 0
; NumAgprs: 0
; TotalNumVgprs: 0
; ScratchSize: 0
; MemoryBound: 0
; FloatMode: 240
; IeeeMode: 1
; LDSByteSize: 0 bytes/workgroup (compile time only)
; SGPRBlocks: 0
; VGPRBlocks: 0
; NumSGPRsForWavesPerEU: 6
; NumVGPRsForWavesPerEU: 1
; AccumOffset: 4
; Occupancy: 8
; WaveLimiterHint : 0
; COMPUTE_PGM_RSRC2:SCRATCH_EN: 0
; COMPUTE_PGM_RSRC2:USER_SGPR: 2
; COMPUTE_PGM_RSRC2:TRAP_HANDLER: 0
; COMPUTE_PGM_RSRC2:TGID_X_EN: 1
; COMPUTE_PGM_RSRC2:TGID_Y_EN: 0
; COMPUTE_PGM_RSRC2:TGID_Z_EN: 0
; COMPUTE_PGM_RSRC2:TIDIG_COMP_CNT: 0
; COMPUTE_PGM_RSRC3_GFX90A:ACCUM_OFFSET: 0
; COMPUTE_PGM_RSRC3_GFX90A:TG_SPLIT: 0
	.text
	.protected	_Z9vgprboundiPd         ; -- Begin function _Z9vgprboundiPd
	.globl	_Z9vgprboundiPd
	.p2align	8
	.type	_Z9vgprboundiPd,@function
_Z9vgprboundiPd:                        ; @_Z9vgprboundiPd
; %bb.0:
	s_load_dword s33, s[0:1], 0x0
	s_load_dwordx2 s[2:3], s[0:1], 0x8
	v_lshlrev_b32_e32 v2, 3, v0
	v_mbcnt_lo_u32_b32 v1, -1, 0
	v_mov_b32_e32 v36, 0
	s_waitcnt lgkmcnt(0)
	v_mul_lo_u32 v0, s33, v0
	global_load_dwordx2 v[34:35], v2, s[2:3]
	v_mbcnt_hi_u32_b32 v1, -1, v1
	v_mov_b32_e32 v3, v36
	v_and_b32_e32 v96, 64, v1
	s_mov_b32 s6, 0x55555555
	s_mov_b32 s8, 0x55555555
	;; [unrolled: 1-line block ×10, first 2 shown]
	v_mov_b32_e32 v67, 0x3f811111
	v_mov_b32_e32 v71, 0x3fa55555
	s_mov_b32 s30, 0
	s_mov_b32 s34, 0
	;; [unrolled: 1-line block ×10, first 2 shown]
	v_cvt_f64_u32_e32 v[0:1], v0
	v_lshl_add_u64 v[32:33], s[2:3], 0, v[2:3]
	s_mov_b32 s58, 0
	s_mov_b32 s7, 0x3fe55555
	;; [unrolled: 1-line block ×3, first 2 shown]
	v_mov_b32_e32 v38, 0x968915a9
	v_mov_b32_e32 v39, 0x3fba6564
	s_mov_b32 s11, 0x3fbdee67
	v_mov_b32_e32 v40, 0x3abe935a
	v_mov_b32_e32 v41, 0x3fbe25e4
	;; [unrolled: 1-line block ×14, first 2 shown]
	s_mov_b32 s13, 0x3fe62e42
	s_mov_b32 s15, 0x3c7abc9e
	;; [unrolled: 1-line block ×4, first 2 shown]
	s_movk_i32 s59, 0x204
	s_mov_b32 s21, 0x7ff00000
	s_mov_b32 s23, 0x3ff71547
	;; [unrolled: 1-line block ×6, first 2 shown]
	v_mov_b32_e32 v54, 0xfca7ab0c
	v_mov_b32_e32 v55, 0x3e928af3
	s_mov_b32 s29, 0x3e5ade15
	v_mov_b32_e32 v56, 0x623fde64
	v_mov_b32_e32 v57, 0x3ec71dee
	v_mov_b32_e32 v58, 0x7c89e6b0
	v_mov_b32_e32 v59, 0x3efa0199
	v_mov_b32_e32 v60, 0x14761f6e
	v_mov_b32_e32 v61, 0x3f2a01a0
	v_mov_b32_e32 v62, 0x1852b7b0
	v_mov_b32_e32 v63, 0x3f56c16c
	v_mov_b32_e32 v64, 0x11122322
	v_mov_b32_e32 v65, v67
	v_mov_b32_e32 v68, 0x555502a1
	v_mov_b32_e32 v69, v71
	v_mov_b32_e32 v72, 0x55555511
	v_mov_b32_e32 v73, 0x3fc55555
	s_mov_b32 s31, 0x40900000
	s_mov_b32 s35, 0xc090cc00
	s_brev_b32 s60, -2
	s_mov_b32 s37, 0x41d00000
	s_mov_b32 s39, 0x7b000000
	s_movk_i32 s61, 0xff80
	s_mov_b32 s41, 0x3ff921fb
	s_mov_b32 s43, 0xbff921fb
	;; [unrolled: 1-line block ×9, first 2 shown]
	s_brev_b32 s62, 1
	s_movk_i32 s63, 0x1f8
	v_mov_b32_e32 v74, 11
	v_mov_b32_e32 v75, 0x3fe00000
	;; [unrolled: 1-line block ×18, first 2 shown]
	v_mov_b64_e32 v[2:3], v[0:1]
	v_mov_b64_e32 v[4:5], v[0:1]
	;; [unrolled: 1-line block ×15, first 2 shown]
	v_mov_b32_e32 v97, 0x3ff00000
	v_mov_b32_e32 v98, 0x7ff00000
	;; [unrolled: 1-line block ×4, first 2 shown]
	s_branch .LBB1_2
.LBB1_1:                                ;   in Loop: Header=BB1_2 Depth=1
	s_or_b64 exec, exec, s[0:1]
	v_mul_f64 v[102:103], v[92:93], v[92:93]
	v_mov_b64_e32 v[110:111], v[76:77]
	v_mul_f64 v[104:105], v[102:103], 0.5
	v_fmac_f64_e32 v[110:111], s[54:55], v[102:103]
	v_mov_b64_e32 v[112:113], v[78:79]
	v_add_f64 v[106:107], -v[104:105], 1.0
	v_fmac_f64_e32 v[112:113], v[102:103], v[110:111]
	v_mov_b64_e32 v[110:111], v[80:81]
	v_add_f64 v[108:109], -v[106:107], 1.0
	v_fmac_f64_e32 v[110:111], v[102:103], v[112:113]
	v_mov_b64_e32 v[112:113], v[82:83]
	v_add_f64 v[104:105], v[108:109], -v[104:105]
	v_fmac_f64_e32 v[112:113], v[102:103], v[110:111]
	v_mov_b64_e32 v[110:111], v[70:71]
	v_mul_f64 v[108:109], v[102:103], v[102:103]
	v_fmac_f64_e32 v[110:111], v[102:103], v[112:113]
	v_fma_f64 v[104:105], v[92:93], -v[94:95], v[104:105]
	v_fmac_f64_e32 v[104:105], v[108:109], v[110:111]
	v_add_f64 v[104:105], v[106:107], v[104:105]
	v_mov_b64_e32 v[106:107], v[84:85]
	v_fmac_f64_e32 v[106:107], s[56:57], v[102:103]
	v_mov_b64_e32 v[108:109], v[86:87]
	v_fmac_f64_e32 v[108:109], v[102:103], v[106:107]
	v_mov_b64_e32 v[106:107], v[88:89]
	v_fmac_f64_e32 v[106:107], v[102:103], v[108:109]
	v_mov_b64_e32 v[108:109], v[66:67]
	v_fmac_f64_e32 v[108:109], v[102:103], v[106:107]
	v_mul_f64 v[106:107], v[92:93], -v[102:103]
	v_mul_f64 v[110:111], v[94:95], 0.5
	v_fmac_f64_e32 v[110:111], v[106:107], v[108:109]
	v_fma_f64 v[94:95], v[102:103], v[110:111], -v[94:95]
	v_fmac_f64_e32 v[94:95], s[8:9], v[106:107]
	v_and_b32_e32 v37, 1, v101
	v_add_f64 v[92:93], v[92:93], -v[94:95]
	v_cmp_eq_u32_e32 vcc, 0, v37
	s_add_i32 s58, s58, 1
	s_cmpk_eq_i32 s58, 0x64
	v_cndmask_b32_e32 v37, v104, v92, vcc
	v_cndmask_b32_e32 v92, v105, v93, vcc
	v_lshlrev_b32_e32 v93, 30, v101
	v_xor_b32_e32 v93, v93, v91
	v_bitop3_b32 v92, v92, v93, s62 bitop3:0x78
	v_cmp_class_f64_e64 vcc, v[90:91], s63
	s_nop 1
	v_cndmask_b32_e32 v90, 0, v37, vcc
	v_cndmask_b32_e32 v91, v99, v92, vcc
	v_add_f64 v[34:35], v[34:35], v[90:91]
	s_set_gpr_idx_on s64, gpr_idx(DST)
	v_mov_b32_e32 v0, v34
	v_mov_b32_e32 v1, v35
	s_set_gpr_idx_off
	s_cbranch_scc1 .LBB1_6
.LBB1_2:                                ; =>This Inner Loop Header: Depth=1
	s_add_i32 s0, s58, -1
	s_bfe_i32 s1, s0, 0x80000
	s_bfe_u32 s1, s1, 0x4000b
	s_add_i32 s1, s0, s1
	v_and_or_b32 v37, s58, 63, v96
	s_and_b32 s1, s1, 0xf0
	v_lshlrev_b32_e32 v37, 2, v37
	s_sub_i32 s0, s0, s1
	s_waitcnt vmcnt(0)
	ds_bpermute_b32 v90, v37, v34
	ds_bpermute_b32 v91, v37, v35
	s_sext_i32_i8 s0, s0
	s_lshl_b32 s0, s0, 1
	s_set_gpr_idx_on s0, gpr_idx(SRC0)
	v_mov_b32_e32 v93, v1
	v_mov_b32_e32 v92, v0
	s_set_gpr_idx_off
	s_and_b32 s0, s58, 15
	s_lshl_b32 s64, s0, 1
	s_waitcnt lgkmcnt(0)
	v_mul_f64 v[90:91], v[92:93], v[90:91]
	s_set_gpr_idx_on s64, gpr_idx(SRC0)
	v_mov_b32_e32 v37, v0
	v_mov_b32_e32 v92, v1
	s_set_gpr_idx_off
	v_cmp_neq_f64_e32 vcc, 1.0, v[90:91]
	s_nop 1
	v_cndmask_b32_e32 v93, v97, v92, vcc
	v_cndmask_b32_e32 v92, 0, v37, vcc
	v_cmp_neq_f64_e32 vcc, 0, v[92:93]
	v_cmp_neq_f64_e64 s[2:3], v[92:93], |v[92:93]|
	s_nop 0
	v_cndmask_b32_e32 v91, v97, v91, vcc
	v_cndmask_b32_e32 v90, 0, v90, vcc
	v_frexp_mant_f64_e64 v[94:95], |v[90:91]|
	v_cmp_gt_f64_e32 vcc, s[6:7], v[94:95]
	v_frexp_exp_i32_f64_e32 v37, v[90:91]
	v_cmp_lt_f64_e64 s[4:5], |v[90:91]|, 1.0
	v_cndmask_b32_e64 v101, 0, 1, vcc
	v_ldexp_f64 v[94:95], v[94:95], v101
	v_add_f64 v[102:103], v[94:95], 1.0
	v_rcp_f64_e32 v[104:105], v[102:103]
	v_add_f64 v[108:109], v[102:103], -1.0
	v_add_f64 v[106:107], v[94:95], -1.0
	v_add_f64 v[94:95], v[94:95], -v[108:109]
	v_fma_f64 v[108:109], -v[102:103], v[104:105], 1.0
	v_fmac_f64_e32 v[104:105], v[108:109], v[104:105]
	v_fma_f64 v[108:109], -v[102:103], v[104:105], 1.0
	v_fmac_f64_e32 v[104:105], v[108:109], v[104:105]
	v_mul_f64 v[108:109], v[106:107], v[104:105]
	v_mul_f64 v[110:111], v[102:103], v[108:109]
	v_fma_f64 v[102:103], v[108:109], v[102:103], -v[110:111]
	v_fmac_f64_e32 v[102:103], v[108:109], v[94:95]
	v_add_f64 v[94:95], v[110:111], v[102:103]
	v_add_f64 v[112:113], v[106:107], -v[94:95]
	v_add_f64 v[110:111], v[94:95], -v[110:111]
	;; [unrolled: 1-line block ×5, first 2 shown]
	v_add_f64 v[94:95], v[102:103], v[94:95]
	v_add_f64 v[94:95], v[112:113], v[94:95]
	v_mul_f64 v[94:95], v[104:105], v[94:95]
	v_add_f64 v[102:103], v[108:109], v[94:95]
	v_add_f64 v[104:105], v[102:103], -v[108:109]
	v_add_f64 v[94:95], v[94:95], -v[104:105]
	v_mul_f64 v[104:105], v[102:103], v[102:103]
	v_fma_f64 v[106:107], v[102:103], v[102:103], -v[104:105]
	v_add_f64 v[108:109], v[94:95], v[94:95]
	v_fmac_f64_e32 v[106:107], v[102:103], v[108:109]
	v_add_f64 v[108:109], v[104:105], v[106:107]
	v_add_f64 v[104:105], v[108:109], -v[104:105]
	v_add_f64 v[104:105], v[106:107], -v[104:105]
	v_fma_f64 v[106:107], s[10:11], v[108:109], v[38:39]
	v_subbrev_co_u32_e32 v37, vcc, 0, v37, vcc
	v_fma_f64 v[106:107], v[108:109], v[106:107], v[40:41]
	v_fma_f64 v[106:107], v[108:109], v[106:107], v[42:43]
	v_cvt_f64_i32_e32 v[110:111], v37
	v_fma_f64 v[106:107], v[108:109], v[106:107], v[44:45]
	v_mul_f64 v[112:113], v[110:111], s[12:13]
	v_mul_f64 v[118:119], v[102:103], v[108:109]
	v_fma_f64 v[106:107], v[108:109], v[106:107], v[46:47]
	v_fma_f64 v[114:115], v[110:111], s[12:13], -v[112:113]
	v_fma_f64 v[120:121], v[108:109], v[102:103], -v[118:119]
	v_fma_f64 v[106:107], v[108:109], v[106:107], v[48:49]
	v_fmac_f64_e32 v[114:115], s[14:15], v[110:111]
	v_fmac_f64_e32 v[120:121], v[108:109], v[94:95]
	v_fma_f64 v[106:107], v[108:109], v[106:107], v[50:51]
	v_add_f64 v[110:111], v[112:113], v[114:115]
	v_fmac_f64_e32 v[120:121], v[104:105], v[102:103]
	v_fma_f64 v[106:107], v[108:109], v[106:107], v[52:53]
	v_add_f64 v[112:113], v[110:111], -v[112:113]
	v_ldexp_f64 v[116:117], v[94:95], 1
	v_add_f64 v[94:95], v[118:119], v[120:121]
	v_add_f64 v[112:113], v[114:115], -v[112:113]
	v_ldexp_f64 v[114:115], v[102:103], 1
	v_add_f64 v[102:103], v[94:95], -v[118:119]
	v_mul_f64 v[118:119], v[108:109], v[106:107]
	v_fma_f64 v[108:109], v[108:109], v[106:107], -v[118:119]
	v_fmac_f64_e32 v[108:109], v[104:105], v[106:107]
	v_add_f64 v[104:105], v[118:119], v[108:109]
	v_add_f64 v[106:107], v[104:105], -v[118:119]
	v_add_f64 v[106:107], v[108:109], -v[106:107]
	v_add_f64 v[108:109], v[104:105], s[6:7]
	v_add_f64 v[118:119], v[108:109], s[16:17]
	v_add_f64 v[104:105], v[104:105], -v[118:119]
	v_add_f64 v[106:107], v[106:107], s[18:19]
	v_add_f64 v[104:105], v[106:107], v[104:105]
	v_add_f64 v[106:107], v[108:109], v[104:105]
	v_add_f64 v[108:109], v[108:109], -v[106:107]
	v_add_f64 v[104:105], v[104:105], v[108:109]
	v_mul_f64 v[108:109], v[94:95], v[106:107]
	v_fma_f64 v[118:119], v[94:95], v[106:107], -v[108:109]
	v_add_f64 v[102:103], v[120:121], -v[102:103]
	v_fmac_f64_e32 v[118:119], v[94:95], v[104:105]
	v_fmac_f64_e32 v[118:119], v[102:103], v[106:107]
	v_add_f64 v[94:95], v[108:109], v[118:119]
	v_add_f64 v[102:103], v[94:95], -v[108:109]
	v_add_f64 v[104:105], v[114:115], v[94:95]
	v_add_f64 v[102:103], v[118:119], -v[102:103]
	v_add_f64 v[106:107], v[104:105], -v[114:115]
	;; [unrolled: 1-line block ×3, first 2 shown]
	v_add_f64 v[102:103], v[116:117], v[102:103]
	v_add_f64 v[94:95], v[102:103], v[94:95]
	;; [unrolled: 1-line block ×3, first 2 shown]
	v_add_f64 v[104:105], v[102:103], -v[104:105]
	v_add_f64 v[94:95], v[94:95], -v[104:105]
	v_add_f64 v[104:105], v[110:111], v[102:103]
	v_add_f64 v[106:107], v[104:105], -v[110:111]
	v_add_f64 v[108:109], v[104:105], -v[106:107]
	;; [unrolled: 1-line block ×4, first 2 shown]
	v_add_f64 v[102:103], v[102:103], v[108:109]
	v_add_f64 v[106:107], v[112:113], v[94:95]
	v_add_f64 v[108:109], v[106:107], -v[112:113]
	v_add_f64 v[102:103], v[106:107], v[102:103]
	v_add_f64 v[110:111], v[106:107], -v[108:109]
	;; [unrolled: 2-line block ×3, first 2 shown]
	v_add_f64 v[94:95], v[94:95], -v[108:109]
	v_add_f64 v[104:105], v[106:107], -v[104:105]
	v_add_f64 v[94:95], v[94:95], v[110:111]
	v_add_f64 v[102:103], v[102:103], -v[104:105]
	v_add_f64 v[94:95], v[94:95], v[102:103]
	v_add_f64 v[102:103], v[106:107], v[94:95]
	v_add_f64 v[104:105], v[102:103], -v[106:107]
	v_add_f64 v[94:95], v[94:95], -v[104:105]
	v_mul_f64 v[104:105], v[92:93], v[102:103]
	v_fma_f64 v[102:103], v[92:93], v[102:103], -v[104:105]
	v_fmac_f64_e32 v[102:103], v[92:93], v[94:95]
	v_add_f64 v[94:95], v[104:105], v[102:103]
	v_cmp_class_f64_e64 vcc, v[104:105], s59
	v_add_f64 v[106:107], v[94:95], -v[104:105]
	v_add_f64 v[102:103], v[102:103], -v[106:107]
	v_cndmask_b32_e32 v95, v95, v105, vcc
	v_cndmask_b32_e32 v94, v94, v104, vcc
	v_mul_f64 v[104:105], v[94:95], s[22:23]
	v_rndne_f64_e32 v[104:105], v[104:105]
	v_fma_f64 v[106:107], s[24:25], v[104:105], v[94:95]
	v_fmac_f64_e32 v[106:107], s[26:27], v[104:105]
	v_fma_f64 v[108:109], s[28:29], v[106:107], v[54:55]
	v_fma_f64 v[108:109], v[106:107], v[108:109], v[56:57]
	;; [unrolled: 1-line block ×9, first 2 shown]
	v_fma_f64 v[108:109], v[106:107], v[108:109], 1.0
	v_cmp_neq_f64_e64 vcc, |v[94:95]|, s[20:21]
	v_fma_f64 v[106:107], v[106:107], v[108:109], 1.0
	v_cvt_i32_f64_e32 v37, v[104:105]
	v_cndmask_b32_e32 v103, 0, v103, vcc
	v_cndmask_b32_e32 v102, 0, v102, vcc
	v_ldexp_f64 v[104:105], v[106:107], v37
	v_cmp_nlt_f64_e32 vcc, s[30:31], v[94:95]
	v_cmp_ngt_f64_e64 s[0:1], s[34:35], v[94:95]
	s_xor_b64 s[2:3], s[2:3], s[4:5]
	v_cndmask_b32_e32 v37, v98, v105, vcc
	s_and_b64 vcc, s[0:1], vcc
	v_cndmask_b32_e64 v95, 0, v37, s[0:1]
	v_cndmask_b32_e32 v94, 0, v104, vcc
	v_mov_b64_e32 v[104:105], v[94:95]
	v_fmac_f64_e32 v[104:105], v[104:105], v[102:103]
	v_cmp_class_f64_e64 vcc, v[94:95], s59
	v_cmp_gt_f64_e64 s[4:5], 0, v[92:93]
	v_cmp_class_f64_e64 s[66:67], v[90:91], s59
	v_cndmask_b32_e32 v37, v104, v94, vcc
	v_cndmask_b32_e32 v101, v105, v95, vcc
	v_trunc_f64_e32 v[94:95], v[92:93]
	v_cmp_eq_f64_e32 vcc, v[94:95], v[92:93]
	v_mul_f64 v[94:95], v[92:93], 0.5
	v_trunc_f64_e32 v[102:103], v[94:95]
	v_cmp_neq_f64_e64 s[0:1], v[102:103], v[94:95]
	s_and_b64 s[0:1], vcc, s[0:1]
	s_nop 0
	v_cndmask_b32_e64 v94, v97, v91, s[0:1]
	v_bfi_b32 v94, s60, v101, v94
	v_cndmask_b32_e32 v95, v99, v94, vcc
	v_cndmask_b32_e32 v101, 0, v37, vcc
	v_cmp_gt_f64_e32 vcc, 0, v[90:91]
	s_nop 1
	v_cndmask_b32_e32 v37, v37, v101, vcc
	v_cndmask_b32_e32 v94, v94, v95, vcc
	v_cndmask_b32_e64 v95, v98, 0, s[2:3]
	v_cmp_neq_f64_e64 vcc, |v[90:91]|, 1.0
	v_cmp_eq_f64_e64 s[2:3], 0, v[90:91]
	s_xor_b64 s[4:5], s[4:5], s[2:3]
	v_cndmask_b32_e32 v95, v97, v95, vcc
	v_cmp_class_f64_e64 vcc, v[92:93], s59
	v_cndmask_b32_e64 v101, 0, v91, s[0:1]
	s_or_b64 s[0:1], s[2:3], s[66:67]
	v_cndmask_b32_e32 v94, v94, v95, vcc
	v_cndmask_b32_e64 v95, v98, 0, s[4:5]
	v_bfi_b32 v95, s60, v95, v101
	v_cndmask_b32_e64 v94, v94, v95, s[0:1]
	s_or_b64 s[0:1], s[0:1], vcc
	v_cndmask_b32_e64 v37, v37, 0, s[0:1]
	v_cmp_o_f64_e32 vcc, v[90:91], v[92:93]
                                        ; implicit-def: $vgpr101
                                        ; implicit-def: $vgpr92_vgpr93
	s_nop 1
	v_cndmask_b32_e32 v90, 0, v37, vcc
	v_cndmask_b32_e32 v91, v99, v94, vcc
	v_cmp_nlt_f64_e64 s[0:1], |v[90:91]|, s[36:37]
                                        ; implicit-def: $vgpr94_vgpr95
	s_and_saveexec_b64 s[2:3], s[0:1]
	s_xor_b64 s[2:3], exec, s[2:3]
	s_cbranch_execz .LBB1_4
; %bb.3:                                ;   in Loop: Header=BB1_2 Depth=1
	v_and_b32_e32 v37, 0x7fffffff, v91
	v_ldexp_f64 v[102:103], |v[90:91]|, s61
	v_cmp_ge_f64_e64 vcc, |v[90:91]|, s[38:39]
	v_trig_preop_f64 v[92:93], |v[90:91]|, 0
	v_trig_preop_f64 v[94:95], |v[90:91]|, 1
	v_cndmask_b32_e32 v103, v37, v103, vcc
	v_cndmask_b32_e32 v102, v90, v102, vcc
	v_mul_f64 v[106:107], v[92:93], v[102:103]
	v_mul_f64 v[104:105], v[94:95], v[102:103]
	v_fma_f64 v[92:93], v[92:93], v[102:103], -v[106:107]
	v_add_f64 v[108:109], v[104:105], v[92:93]
	v_add_f64 v[116:117], v[108:109], -v[104:105]
	v_add_f64 v[92:93], v[92:93], -v[116:117]
	;; [unrolled: 1-line block ×4, first 2 shown]
	v_fma_f64 v[94:95], v[94:95], v[102:103], -v[104:105]
	v_trig_preop_f64 v[104:105], |v[90:91]|, 2
	v_add_f64 v[92:93], v[92:93], v[116:117]
	v_mul_f64 v[116:117], v[104:105], v[102:103]
	v_add_f64 v[118:119], v[116:117], v[94:95]
	v_add_f64 v[110:111], v[106:107], v[108:109]
	;; [unrolled: 1-line block ×3, first 2 shown]
	v_ldexp_f64 v[112:113], v[110:111], -2
	v_add_f64 v[106:107], v[110:111], -v[106:107]
	v_add_f64 v[110:111], v[120:121], -v[118:119]
	;; [unrolled: 1-line block ×5, first 2 shown]
	v_add_f64 v[92:93], v[92:93], v[110:111]
	v_add_f64 v[110:111], v[118:119], -v[116:117]
	v_add_f64 v[94:95], v[94:95], -v[110:111]
	;; [unrolled: 1-line block ×4, first 2 shown]
	v_add_f64 v[94:95], v[94:95], v[110:111]
	v_fract_f64_e32 v[114:115], v[112:113]
	v_add_f64 v[92:93], v[94:95], v[92:93]
	v_fma_f64 v[94:95], v[104:105], v[102:103], -v[116:117]
	v_add_f64 v[106:107], v[108:109], -v[106:107]
	v_add_f64 v[92:93], v[94:95], v[92:93]
	v_ldexp_f64 v[94:95], v[114:115], 2
	v_cmp_neq_f64_e64 vcc, |v[112:113]|, s[20:21]
	v_add_f64 v[108:109], v[106:107], v[120:121]
	v_add_f64 v[106:107], v[108:109], -v[106:107]
	v_cndmask_b32_e32 v95, 0, v95, vcc
	v_cndmask_b32_e32 v94, 0, v94, vcc
	v_add_f64 v[102:103], v[108:109], v[94:95]
	v_cmp_gt_f64_e32 vcc, 0, v[102:103]
	v_add_f64 v[106:107], v[120:121], -v[106:107]
	v_add_f64 v[92:93], v[106:107], v[92:93]
	v_cndmask_b32_e32 v37, 0, v100, vcc
	v_add_f64 v[94:95], v[94:95], v[36:37]
	v_add_f64 v[102:103], v[108:109], v[94:95]
	v_cvt_i32_f64_e32 v37, v[102:103]
	v_cvt_f64_i32_e32 v[102:103], v37
	v_add_f64 v[94:95], v[94:95], -v[102:103]
	v_add_f64 v[102:103], v[108:109], v[94:95]
	v_add_f64 v[94:95], v[102:103], -v[94:95]
	v_cmp_le_f64_e32 vcc, 0.5, v[102:103]
	v_add_f64 v[94:95], v[108:109], -v[94:95]
	v_add_f64 v[92:93], v[92:93], v[94:95]
	v_addc_co_u32_e64 v101, s[0:1], 0, v37, vcc
	v_cndmask_b32_e32 v37, 0, v97, vcc
	v_add_f64 v[94:95], v[102:103], -v[36:37]
	v_add_f64 v[102:103], v[94:95], v[92:93]
	v_add_f64 v[94:95], v[102:103], -v[94:95]
	s_mov_b32 s40, s42
	v_add_f64 v[92:93], v[92:93], -v[94:95]
	v_mul_f64 v[94:95], v[102:103], s[40:41]
	v_fma_f64 v[104:105], v[102:103], s[40:41], -v[94:95]
	s_mov_b32 s47, s45
	v_fmac_f64_e32 v[104:105], s[46:47], v[102:103]
	v_fmac_f64_e32 v[104:105], s[40:41], v[92:93]
	v_add_f64 v[92:93], v[94:95], v[104:105]
	v_add_f64 v[94:95], v[92:93], -v[94:95]
	v_add_f64 v[94:95], v[104:105], -v[94:95]
.LBB1_4:                                ;   in Loop: Header=BB1_2 Depth=1
	s_andn2_saveexec_b64 s[0:1], s[2:3]
	s_cbranch_execz .LBB1_1
; %bb.5:                                ;   in Loop: Header=BB1_2 Depth=1
	v_mul_f64 v[92:93], |v[90:91]|, s[48:49]
	v_rndne_f64_e32 v[102:103], v[92:93]
	v_fma_f64 v[92:93], v[102:103], s[42:43], |v[90:91]|
	v_mul_f64 v[104:105], v[102:103], s[50:51]
	v_add_f64 v[108:109], v[92:93], v[104:105]
	v_fma_f64 v[94:95], s[50:51], v[102:103], v[92:93]
	s_mov_b32 s44, s50
	v_add_f64 v[92:93], v[92:93], -v[108:109]
	v_fma_f64 v[106:107], s[44:45], v[102:103], v[104:105]
	v_add_f64 v[92:93], v[92:93], v[104:105]
	v_add_f64 v[104:105], v[108:109], -v[94:95]
	v_add_f64 v[92:93], v[104:105], v[92:93]
	v_add_f64 v[104:105], v[92:93], -v[106:107]
	v_fmac_f64_e32 v[104:105], s[52:53], v[102:103]
	v_add_f64 v[92:93], v[94:95], v[104:105]
	v_add_f64 v[94:95], v[92:93], -v[94:95]
	v_add_f64 v[94:95], v[104:105], -v[94:95]
	v_cvt_i32_f64_e32 v101, v[102:103]
	s_branch .LBB1_1
.LBB1_6:
	v_cvt_f64_i32_e32 v[0:1], s33
	v_cmp_eq_f64_e32 vcc, v[34:35], v[0:1]
	s_and_saveexec_b64 s[0:1], vcc
	s_cbranch_execz .LBB1_8
; %bb.7:
	global_store_dwordx2 v[32:33], v[34:35], off
.LBB1_8:
	s_endpgm
	.section	.rodata,"a",@progbits
	.p2align	6, 0x0
	.amdhsa_kernel _Z9vgprboundiPd
		.amdhsa_group_segment_fixed_size 0
		.amdhsa_private_segment_fixed_size 0
		.amdhsa_kernarg_size 16
		.amdhsa_user_sgpr_count 2
		.amdhsa_user_sgpr_dispatch_ptr 0
		.amdhsa_user_sgpr_queue_ptr 0
		.amdhsa_user_sgpr_kernarg_segment_ptr 1
		.amdhsa_user_sgpr_dispatch_id 0
		.amdhsa_user_sgpr_kernarg_preload_length 0
		.amdhsa_user_sgpr_kernarg_preload_offset 0
		.amdhsa_user_sgpr_private_segment_size 0
		.amdhsa_uses_dynamic_stack 0
		.amdhsa_enable_private_segment 0
		.amdhsa_system_sgpr_workgroup_id_x 1
		.amdhsa_system_sgpr_workgroup_id_y 0
		.amdhsa_system_sgpr_workgroup_id_z 0
		.amdhsa_system_sgpr_workgroup_info 0
		.amdhsa_system_vgpr_workitem_id 0
		.amdhsa_next_free_vgpr 122
		.amdhsa_next_free_sgpr 68
		.amdhsa_accum_offset 124
		.amdhsa_reserve_vcc 1
		.amdhsa_float_round_mode_32 0
		.amdhsa_float_round_mode_16_64 0
		.amdhsa_float_denorm_mode_32 3
		.amdhsa_float_denorm_mode_16_64 3
		.amdhsa_dx10_clamp 1
		.amdhsa_ieee_mode 1
		.amdhsa_fp16_overflow 0
		.amdhsa_tg_split 0
		.amdhsa_exception_fp_ieee_invalid_op 0
		.amdhsa_exception_fp_denorm_src 0
		.amdhsa_exception_fp_ieee_div_zero 0
		.amdhsa_exception_fp_ieee_overflow 0
		.amdhsa_exception_fp_ieee_underflow 0
		.amdhsa_exception_fp_ieee_inexact 0
		.amdhsa_exception_int_div_zero 0
	.end_amdhsa_kernel
	.text
.Lfunc_end1:
	.size	_Z9vgprboundiPd, .Lfunc_end1-_Z9vgprboundiPd
                                        ; -- End function
	.set _Z9vgprboundiPd.num_vgpr, 122
	.set _Z9vgprboundiPd.num_agpr, 0
	.set _Z9vgprboundiPd.numbered_sgpr, 68
	.set _Z9vgprboundiPd.num_named_barrier, 0
	.set _Z9vgprboundiPd.private_seg_size, 0
	.set _Z9vgprboundiPd.uses_vcc, 1
	.set _Z9vgprboundiPd.uses_flat_scratch, 0
	.set _Z9vgprboundiPd.has_dyn_sized_stack, 0
	.set _Z9vgprboundiPd.has_recursion, 0
	.set _Z9vgprboundiPd.has_indirect_call, 0
	.section	.AMDGPU.csdata,"",@progbits
; Kernel info:
; codeLenInByte = 3416
; TotalNumSgprs: 74
; NumVgprs: 122
; NumAgprs: 0
; TotalNumVgprs: 122
; ScratchSize: 0
; MemoryBound: 0
; FloatMode: 240
; IeeeMode: 1
; LDSByteSize: 0 bytes/workgroup (compile time only)
; SGPRBlocks: 9
; VGPRBlocks: 15
; NumSGPRsForWavesPerEU: 74
; NumVGPRsForWavesPerEU: 122
; AccumOffset: 124
; Occupancy: 4
; WaveLimiterHint : 0
; COMPUTE_PGM_RSRC2:SCRATCH_EN: 0
; COMPUTE_PGM_RSRC2:USER_SGPR: 2
; COMPUTE_PGM_RSRC2:TRAP_HANDLER: 0
; COMPUTE_PGM_RSRC2:TGID_X_EN: 1
; COMPUTE_PGM_RSRC2:TGID_Y_EN: 0
; COMPUTE_PGM_RSRC2:TGID_Z_EN: 0
; COMPUTE_PGM_RSRC2:TIDIG_COMP_CNT: 0
; COMPUTE_PGM_RSRC3_GFX90A:ACCUM_OFFSET: 30
; COMPUTE_PGM_RSRC3_GFX90A:TG_SPLIT: 0
	.text
	.protected	_Z8ldsboundiPd          ; -- Begin function _Z8ldsboundiPd
	.globl	_Z8ldsboundiPd
	.p2align	8
	.type	_Z8ldsboundiPd,@function
_Z8ldsboundiPd:                         ; @_Z8ldsboundiPd
; %bb.0:
	s_load_dword s33, s[0:1], 0x0
	s_load_dword s2, s[0:1], 0x1c
	v_lshlrev_b32_e32 v1, 3, v0
	s_movk_i32 s4, 0x1fff
	v_mov_b32_e32 v4, v1
	s_waitcnt lgkmcnt(0)
	v_mul_lo_u32 v2, s33, v0
	s_and_b32 s60, s2, 0xffff
	v_cvt_f64_u32_e32 v[2:3], v2
	s_lshl_b32 s61, s60, 3
	s_mov_b64 s[2:3], 0
	v_mov_b32_e32 v5, v0
.LBB2_1:                                ; =>This Inner Loop Header: Depth=1
	v_add_u32_e32 v5, s60, v5
	v_cmp_lt_u32_e32 vcc, s4, v5
	ds_write_b64 v4, v[2:3]
	s_or_b64 s[2:3], vcc, s[2:3]
	v_add_u32_e32 v4, s61, v4
	s_andn2_b64 exec, exec, s[2:3]
	s_cbranch_execnz .LBB2_1
; %bb.2:
	s_or_b64 exec, exec, s[2:3]
	s_load_dwordx2 s[0:1], s[0:1], 0x8
	v_mov_b32_e32 v6, 0
	v_lshlrev_b32_e32 v4, 3, v0
	v_mov_b32_e32 v5, v6
	s_waitcnt lgkmcnt(0)
	s_barrier
	v_lshl_add_u64 v[2:3], s[0:1], 0, v[4:5]
	global_load_dwordx2 v[4:5], v4, s[0:1]
	v_mbcnt_lo_u32_b32 v7, -1, 0
	v_mbcnt_hi_u32_b32 v7, -1, v7
	s_mov_b32 s8, 0x55555555
	s_mov_b32 s10, 0x4222de17
	;; [unrolled: 1-line block ×8, first 2 shown]
	v_mov_b32_e32 v35, 0x3f811111
	v_mov_b32_e32 v37, 0x3fa55555
	s_mov_b32 s30, 0
	s_mov_b32 s34, 0
	;; [unrolled: 1-line block ×10, first 2 shown]
	v_and_b32_e32 v66, 64, v7
	s_mov_b64 s[6:7], 0
	s_movk_i32 s62, 0x1fff
	v_mov_b32_e32 v67, 0x3ff00000
	s_mov_b32 s9, 0x3fe55555
	v_mov_b32_e32 v8, 0x968915a9
	v_mov_b32_e32 v9, 0x3fba6564
	s_mov_b32 s11, 0x3fbdee67
	v_mov_b32_e32 v10, 0x3abe935a
	v_mov_b32_e32 v11, 0x3fbe25e4
	;; [unrolled: 1-line block ×14, first 2 shown]
	s_mov_b32 s13, 0x3fe62e42
	s_mov_b32 s15, 0x3c7abc9e
	;; [unrolled: 1-line block ×5, first 2 shown]
	s_movk_i32 s63, 0x204
	s_mov_b32 s21, 0x7ff00000
	s_mov_b32 s23, 0x3ff71547
	;; [unrolled: 1-line block ×6, first 2 shown]
	v_mov_b32_e32 v24, 0xfca7ab0c
	v_mov_b32_e32 v25, 0x3e928af3
	s_mov_b32 s29, 0x3e5ade15
	v_mov_b32_e32 v26, 0x623fde64
	v_mov_b32_e32 v27, 0x3ec71dee
	;; [unrolled: 1-line block ×14, first 2 shown]
	s_mov_b32 s31, 0x40900000
	v_mov_b32_e32 v68, 0x7ff00000
	s_mov_b32 s35, 0xc090cc00
	s_brev_b32 s64, -2
	v_mov_b32_e32 v69, 0x7ff80000
	s_mov_b32 s37, 0x41d00000
	s_mov_b32 s39, 0x7b000000
	s_movk_i32 s65, 0xff80
	s_mov_b32 s41, 0x3ff921fb
	s_mov_b32 s43, 0xbff921fb
	;; [unrolled: 1-line block ×7, first 2 shown]
	v_mov_b32_e32 v42, 0x9037ab78
	v_mov_b32_e32 v43, 0x3e21eeb6
	s_mov_b32 s55, 0xbda907db
	v_mov_b32_e32 v44, 0xa17f65f6
	v_mov_b32_e32 v45, 0xbe927e4f
	;; [unrolled: 1-line block ×10, first 2 shown]
	s_mov_b32 s57, 0x3de5e0b2
	v_mov_b32_e32 v54, 0x796cde01
	v_mov_b32_e32 v55, 0x3ec71de3
	v_mov_b32_e32 v56, 0x19e83e5c
	v_mov_b32_e32 v57, 0xbf2a01a0
	v_mov_b32_e32 v58, 0x11110bb3
	v_mov_b32_e32 v59, v35
	s_mov_b32 s59, 0xbfc55555
	s_mov_b32 s58, s8
	s_brev_b32 s66, 1
	s_movk_i32 s67, 0x1f8
	v_mov_b32_e32 v70, 0x40100000
	s_branch .LBB2_4
.LBB2_3:                                ;   in Loop: Header=BB2_4 Depth=1
	s_or_b64 exec, exec, s[0:1]
	v_mul_f64 v[72:73], v[62:63], v[62:63]
	v_mul_f64 v[74:75], v[72:73], 0.5
	v_fma_f64 v[80:81], s[54:55], v[72:73], v[42:43]
	v_add_f64 v[76:77], -v[74:75], 1.0
	v_fma_f64 v[80:81], v[72:73], v[80:81], v[44:45]
	v_add_f64 v[78:79], -v[76:77], 1.0
	v_fma_f64 v[80:81], v[72:73], v[80:81], v[46:47]
	v_add_f64 v[74:75], v[78:79], -v[74:75]
	v_fma_f64 v[80:81], v[72:73], v[80:81], v[48:49]
	v_mul_f64 v[78:79], v[72:73], v[72:73]
	v_fma_f64 v[80:81], v[72:73], v[80:81], v[50:51]
	v_fma_f64 v[74:75], v[62:63], -v[64:65], v[74:75]
	v_fmac_f64_e32 v[74:75], v[78:79], v[80:81]
	v_add_f64 v[74:75], v[76:77], v[74:75]
	v_fma_f64 v[76:77], s[56:57], v[72:73], v[52:53]
	v_fma_f64 v[76:77], v[72:73], v[76:77], v[54:55]
	;; [unrolled: 1-line block ×4, first 2 shown]
	v_mul_f64 v[78:79], v[62:63], -v[72:73]
	v_mul_f64 v[80:81], v[64:65], 0.5
	v_fmac_f64_e32 v[80:81], v[78:79], v[76:77]
	v_fma_f64 v[64:65], v[72:73], v[80:81], -v[64:65]
	v_fmac_f64_e32 v[64:65], s[58:59], v[78:79]
	v_and_b32_e32 v7, 1, v71
	v_add_f64 v[62:63], v[62:63], -v[64:65]
	v_cmp_eq_u32_e32 vcc, 0, v7
	v_add_u32_e32 v0, s60, v0
	s_nop 0
	v_cndmask_b32_e32 v7, v74, v62, vcc
	v_cndmask_b32_e32 v62, v75, v63, vcc
	v_lshlrev_b32_e32 v63, 30, v71
	v_xor_b32_e32 v63, v63, v61
	v_bitop3_b32 v62, v62, v63, s66 bitop3:0x78
	v_cmp_class_f64_e64 vcc, v[60:61], s67
	s_barrier
	s_nop 0
	v_cndmask_b32_e32 v60, 0, v7, vcc
	v_cndmask_b32_e32 v61, v69, v62, vcc
	v_add_f64 v[4:5], v[4:5], v[60:61]
	v_cmp_lt_u32_e32 vcc, s62, v0
	ds_write_b64 v1, v[4:5]
	s_or_b64 s[6:7], vcc, s[6:7]
	v_add_u32_e32 v1, s61, v1
	s_andn2_b64 exec, exec, s[6:7]
	s_cbranch_execz .LBB2_8
.LBB2_4:                                ; =>This Inner Loop Header: Depth=1
	v_and_or_b32 v7, v0, 63, v66
	v_lshlrev_b32_e32 v7, 2, v7
	s_waitcnt vmcnt(0)
	ds_bpermute_b32 v60, v7, v4
	ds_bpermute_b32 v61, v7, v5
	v_add_u32_e32 v7, -1, v0
	v_and_b32_e32 v7, 0x1fff, v7
	v_lshlrev_b32_e32 v7, 3, v7
	ds_read_b64 v[62:63], v7
	ds_read_b64 v[64:65], v1
	s_waitcnt lgkmcnt(1)
	v_mul_f64 v[60:61], v[62:63], v[60:61]
	v_cmp_neq_f64_e32 vcc, 1.0, v[60:61]
	s_waitcnt lgkmcnt(0)
	s_nop 0
	v_cndmask_b32_e32 v63, v67, v65, vcc
	v_cndmask_b32_e32 v62, 0, v64, vcc
	v_cmp_neq_f64_e32 vcc, 0, v[62:63]
	v_cmp_neq_f64_e64 s[2:3], v[62:63], |v[62:63]|
	s_nop 0
	v_cndmask_b32_e32 v61, v67, v61, vcc
	v_cndmask_b32_e32 v60, 0, v60, vcc
	v_frexp_mant_f64_e64 v[64:65], |v[60:61]|
	v_cmp_gt_f64_e32 vcc, s[8:9], v[64:65]
	v_frexp_exp_i32_f64_e32 v7, v[60:61]
	v_cmp_lt_f64_e64 s[4:5], |v[60:61]|, 1.0
	v_cndmask_b32_e64 v71, 0, 1, vcc
	v_ldexp_f64 v[64:65], v[64:65], v71
	v_add_f64 v[72:73], v[64:65], 1.0
	v_rcp_f64_e32 v[74:75], v[72:73]
	v_add_f64 v[78:79], v[72:73], -1.0
	v_add_f64 v[76:77], v[64:65], -1.0
	v_add_f64 v[64:65], v[64:65], -v[78:79]
	v_fma_f64 v[78:79], -v[72:73], v[74:75], 1.0
	v_fmac_f64_e32 v[74:75], v[78:79], v[74:75]
	v_fma_f64 v[78:79], -v[72:73], v[74:75], 1.0
	v_fmac_f64_e32 v[74:75], v[78:79], v[74:75]
	v_mul_f64 v[78:79], v[76:77], v[74:75]
	v_mul_f64 v[80:81], v[72:73], v[78:79]
	v_fma_f64 v[72:73], v[78:79], v[72:73], -v[80:81]
	v_fmac_f64_e32 v[72:73], v[78:79], v[64:65]
	v_add_f64 v[64:65], v[80:81], v[72:73]
	v_add_f64 v[82:83], v[76:77], -v[64:65]
	v_add_f64 v[80:81], v[64:65], -v[80:81]
	;; [unrolled: 1-line block ×5, first 2 shown]
	v_add_f64 v[64:65], v[72:73], v[64:65]
	v_add_f64 v[64:65], v[82:83], v[64:65]
	v_mul_f64 v[64:65], v[74:75], v[64:65]
	v_add_f64 v[72:73], v[78:79], v[64:65]
	v_add_f64 v[74:75], v[72:73], -v[78:79]
	v_add_f64 v[64:65], v[64:65], -v[74:75]
	v_mul_f64 v[74:75], v[72:73], v[72:73]
	v_fma_f64 v[76:77], v[72:73], v[72:73], -v[74:75]
	v_add_f64 v[78:79], v[64:65], v[64:65]
	v_fmac_f64_e32 v[76:77], v[72:73], v[78:79]
	v_add_f64 v[78:79], v[74:75], v[76:77]
	v_add_f64 v[74:75], v[78:79], -v[74:75]
	v_add_f64 v[74:75], v[76:77], -v[74:75]
	v_fma_f64 v[76:77], s[10:11], v[78:79], v[8:9]
	v_subbrev_co_u32_e32 v7, vcc, 0, v7, vcc
	v_fma_f64 v[76:77], v[78:79], v[76:77], v[10:11]
	v_fma_f64 v[76:77], v[78:79], v[76:77], v[12:13]
	v_cvt_f64_i32_e32 v[80:81], v7
	v_fma_f64 v[76:77], v[78:79], v[76:77], v[14:15]
	v_mul_f64 v[82:83], v[80:81], s[12:13]
	v_mul_f64 v[88:89], v[72:73], v[78:79]
	v_fma_f64 v[76:77], v[78:79], v[76:77], v[16:17]
	v_fma_f64 v[84:85], v[80:81], s[12:13], -v[82:83]
	v_fma_f64 v[90:91], v[78:79], v[72:73], -v[88:89]
	v_fma_f64 v[76:77], v[78:79], v[76:77], v[18:19]
	v_fmac_f64_e32 v[84:85], s[14:15], v[80:81]
	v_fmac_f64_e32 v[90:91], v[78:79], v[64:65]
	v_fma_f64 v[76:77], v[78:79], v[76:77], v[20:21]
	v_add_f64 v[80:81], v[82:83], v[84:85]
	v_fmac_f64_e32 v[90:91], v[74:75], v[72:73]
	v_fma_f64 v[76:77], v[78:79], v[76:77], v[22:23]
	v_add_f64 v[82:83], v[80:81], -v[82:83]
	v_ldexp_f64 v[86:87], v[64:65], 1
	v_add_f64 v[64:65], v[88:89], v[90:91]
	v_add_f64 v[82:83], v[84:85], -v[82:83]
	v_ldexp_f64 v[84:85], v[72:73], 1
	v_add_f64 v[72:73], v[64:65], -v[88:89]
	v_mul_f64 v[88:89], v[78:79], v[76:77]
	v_fma_f64 v[78:79], v[78:79], v[76:77], -v[88:89]
	v_fmac_f64_e32 v[78:79], v[74:75], v[76:77]
	v_add_f64 v[74:75], v[88:89], v[78:79]
	v_add_f64 v[76:77], v[74:75], -v[88:89]
	v_add_f64 v[76:77], v[78:79], -v[76:77]
	v_add_f64 v[78:79], v[74:75], s[8:9]
	v_add_f64 v[88:89], v[78:79], s[16:17]
	v_add_f64 v[74:75], v[74:75], -v[88:89]
	v_add_f64 v[76:77], v[76:77], s[18:19]
	v_add_f64 v[74:75], v[76:77], v[74:75]
	;; [unrolled: 1-line block ×3, first 2 shown]
	v_add_f64 v[78:79], v[78:79], -v[76:77]
	v_add_f64 v[74:75], v[74:75], v[78:79]
	v_mul_f64 v[78:79], v[64:65], v[76:77]
	v_fma_f64 v[88:89], v[64:65], v[76:77], -v[78:79]
	v_add_f64 v[72:73], v[90:91], -v[72:73]
	v_fmac_f64_e32 v[88:89], v[64:65], v[74:75]
	v_fmac_f64_e32 v[88:89], v[72:73], v[76:77]
	v_add_f64 v[64:65], v[78:79], v[88:89]
	v_add_f64 v[72:73], v[64:65], -v[78:79]
	v_add_f64 v[74:75], v[84:85], v[64:65]
	v_add_f64 v[72:73], v[88:89], -v[72:73]
	v_add_f64 v[76:77], v[74:75], -v[84:85]
	;; [unrolled: 1-line block ×3, first 2 shown]
	v_add_f64 v[72:73], v[86:87], v[72:73]
	v_add_f64 v[64:65], v[72:73], v[64:65]
	;; [unrolled: 1-line block ×3, first 2 shown]
	v_add_f64 v[74:75], v[72:73], -v[74:75]
	v_add_f64 v[64:65], v[64:65], -v[74:75]
	v_add_f64 v[74:75], v[80:81], v[72:73]
	v_add_f64 v[76:77], v[74:75], -v[80:81]
	v_add_f64 v[78:79], v[74:75], -v[76:77]
	;; [unrolled: 1-line block ×4, first 2 shown]
	v_add_f64 v[72:73], v[72:73], v[78:79]
	v_add_f64 v[76:77], v[82:83], v[64:65]
	v_add_f64 v[78:79], v[76:77], -v[82:83]
	v_add_f64 v[72:73], v[76:77], v[72:73]
	v_add_f64 v[80:81], v[76:77], -v[78:79]
	;; [unrolled: 2-line block ×3, first 2 shown]
	v_add_f64 v[64:65], v[64:65], -v[78:79]
	v_add_f64 v[74:75], v[76:77], -v[74:75]
	v_add_f64 v[64:65], v[64:65], v[80:81]
	v_add_f64 v[72:73], v[72:73], -v[74:75]
	v_add_f64 v[64:65], v[64:65], v[72:73]
	v_add_f64 v[72:73], v[76:77], v[64:65]
	v_add_f64 v[74:75], v[72:73], -v[76:77]
	v_add_f64 v[64:65], v[64:65], -v[74:75]
	v_mul_f64 v[74:75], v[62:63], v[72:73]
	v_fma_f64 v[72:73], v[62:63], v[72:73], -v[74:75]
	v_fmac_f64_e32 v[72:73], v[62:63], v[64:65]
	v_add_f64 v[64:65], v[74:75], v[72:73]
	v_cmp_class_f64_e64 vcc, v[74:75], s63
	v_add_f64 v[76:77], v[64:65], -v[74:75]
	v_add_f64 v[72:73], v[72:73], -v[76:77]
	v_cndmask_b32_e32 v65, v65, v75, vcc
	v_cndmask_b32_e32 v64, v64, v74, vcc
	v_mul_f64 v[74:75], v[64:65], s[22:23]
	v_rndne_f64_e32 v[74:75], v[74:75]
	v_fma_f64 v[76:77], s[24:25], v[74:75], v[64:65]
	v_fmac_f64_e32 v[76:77], s[26:27], v[74:75]
	v_fma_f64 v[78:79], s[28:29], v[76:77], v[24:25]
	v_fma_f64 v[78:79], v[76:77], v[78:79], v[26:27]
	;; [unrolled: 1-line block ×9, first 2 shown]
	v_fma_f64 v[78:79], v[76:77], v[78:79], 1.0
	v_cmp_neq_f64_e64 vcc, |v[64:65]|, s[20:21]
	v_fma_f64 v[76:77], v[76:77], v[78:79], 1.0
	v_cvt_i32_f64_e32 v7, v[74:75]
	v_cndmask_b32_e32 v73, 0, v73, vcc
	v_cndmask_b32_e32 v72, 0, v72, vcc
	v_ldexp_f64 v[74:75], v[76:77], v7
	v_cmp_nlt_f64_e32 vcc, s[30:31], v[64:65]
	v_cmp_ngt_f64_e64 s[0:1], s[34:35], v[64:65]
	s_xor_b64 s[2:3], s[2:3], s[4:5]
	v_cndmask_b32_e32 v7, v68, v75, vcc
	s_and_b64 vcc, s[0:1], vcc
	v_cndmask_b32_e64 v65, 0, v7, s[0:1]
	v_cndmask_b32_e32 v64, 0, v74, vcc
	v_mov_b64_e32 v[74:75], v[64:65]
	v_fmac_f64_e32 v[74:75], v[74:75], v[72:73]
	v_cmp_class_f64_e64 vcc, v[64:65], s63
	v_cmp_gt_f64_e64 s[4:5], 0, v[62:63]
	v_cmp_class_f64_e64 s[68:69], v[60:61], s63
	v_cndmask_b32_e32 v7, v74, v64, vcc
	v_cndmask_b32_e32 v71, v75, v65, vcc
	v_trunc_f64_e32 v[64:65], v[62:63]
	v_cmp_eq_f64_e32 vcc, v[64:65], v[62:63]
	v_mul_f64 v[64:65], v[62:63], 0.5
	v_trunc_f64_e32 v[72:73], v[64:65]
	v_cmp_neq_f64_e64 s[0:1], v[72:73], v[64:65]
	s_and_b64 s[0:1], vcc, s[0:1]
	s_nop 0
	v_cndmask_b32_e64 v64, v67, v61, s[0:1]
	v_bfi_b32 v64, s64, v71, v64
	v_cndmask_b32_e32 v65, v69, v64, vcc
	v_cndmask_b32_e32 v71, 0, v7, vcc
	v_cmp_gt_f64_e32 vcc, 0, v[60:61]
	s_nop 1
	v_cndmask_b32_e32 v7, v7, v71, vcc
	v_cndmask_b32_e32 v64, v64, v65, vcc
	v_cndmask_b32_e64 v65, v68, 0, s[2:3]
	v_cmp_neq_f64_e64 vcc, |v[60:61]|, 1.0
	v_cmp_eq_f64_e64 s[2:3], 0, v[60:61]
	s_xor_b64 s[4:5], s[4:5], s[2:3]
	v_cndmask_b32_e32 v65, v67, v65, vcc
	v_cmp_class_f64_e64 vcc, v[62:63], s63
	v_cndmask_b32_e64 v71, 0, v61, s[0:1]
	s_or_b64 s[0:1], s[2:3], s[68:69]
	v_cndmask_b32_e32 v64, v64, v65, vcc
	v_cndmask_b32_e64 v65, v68, 0, s[4:5]
	v_bfi_b32 v65, s64, v65, v71
	v_cndmask_b32_e64 v64, v64, v65, s[0:1]
	s_or_b64 s[0:1], s[0:1], vcc
	v_cndmask_b32_e64 v7, v7, 0, s[0:1]
	v_cmp_o_f64_e32 vcc, v[60:61], v[62:63]
                                        ; implicit-def: $vgpr71
                                        ; implicit-def: $vgpr62_vgpr63
	s_nop 1
	v_cndmask_b32_e32 v60, 0, v7, vcc
	v_cndmask_b32_e32 v61, v69, v64, vcc
	v_cmp_nlt_f64_e64 s[0:1], |v[60:61]|, s[36:37]
                                        ; implicit-def: $vgpr64_vgpr65
	s_and_saveexec_b64 s[2:3], s[0:1]
	s_xor_b64 s[2:3], exec, s[2:3]
	s_cbranch_execz .LBB2_6
; %bb.5:                                ;   in Loop: Header=BB2_4 Depth=1
	v_and_b32_e32 v7, 0x7fffffff, v61
	v_ldexp_f64 v[72:73], |v[60:61]|, s65
	v_cmp_ge_f64_e64 vcc, |v[60:61]|, s[38:39]
	v_trig_preop_f64 v[62:63], |v[60:61]|, 0
	v_trig_preop_f64 v[64:65], |v[60:61]|, 1
	v_cndmask_b32_e32 v73, v7, v73, vcc
	v_cndmask_b32_e32 v72, v60, v72, vcc
	v_mul_f64 v[76:77], v[62:63], v[72:73]
	v_mul_f64 v[74:75], v[64:65], v[72:73]
	v_fma_f64 v[62:63], v[62:63], v[72:73], -v[76:77]
	v_add_f64 v[78:79], v[74:75], v[62:63]
	v_add_f64 v[86:87], v[78:79], -v[74:75]
	v_add_f64 v[62:63], v[62:63], -v[86:87]
	;; [unrolled: 1-line block ×4, first 2 shown]
	v_fma_f64 v[64:65], v[64:65], v[72:73], -v[74:75]
	v_trig_preop_f64 v[74:75], |v[60:61]|, 2
	v_add_f64 v[62:63], v[62:63], v[86:87]
	v_mul_f64 v[86:87], v[74:75], v[72:73]
	v_add_f64 v[88:89], v[86:87], v[64:65]
	v_add_f64 v[80:81], v[76:77], v[78:79]
	;; [unrolled: 1-line block ×3, first 2 shown]
	v_ldexp_f64 v[82:83], v[80:81], -2
	v_add_f64 v[76:77], v[80:81], -v[76:77]
	v_add_f64 v[80:81], v[90:91], -v[88:89]
	;; [unrolled: 1-line block ×5, first 2 shown]
	v_add_f64 v[62:63], v[62:63], v[80:81]
	v_add_f64 v[80:81], v[88:89], -v[86:87]
	v_add_f64 v[64:65], v[64:65], -v[80:81]
	;; [unrolled: 1-line block ×4, first 2 shown]
	v_add_f64 v[64:65], v[64:65], v[80:81]
	v_fract_f64_e32 v[84:85], v[82:83]
	v_add_f64 v[62:63], v[64:65], v[62:63]
	v_fma_f64 v[64:65], v[74:75], v[72:73], -v[86:87]
	v_add_f64 v[76:77], v[78:79], -v[76:77]
	v_add_f64 v[62:63], v[64:65], v[62:63]
	v_ldexp_f64 v[64:65], v[84:85], 2
	v_cmp_neq_f64_e64 vcc, |v[82:83]|, s[20:21]
	v_add_f64 v[78:79], v[76:77], v[90:91]
	v_add_f64 v[76:77], v[78:79], -v[76:77]
	v_cndmask_b32_e32 v65, 0, v65, vcc
	v_cndmask_b32_e32 v64, 0, v64, vcc
	v_add_f64 v[72:73], v[78:79], v[64:65]
	v_cmp_gt_f64_e32 vcc, 0, v[72:73]
	v_add_f64 v[76:77], v[90:91], -v[76:77]
	v_add_f64 v[62:63], v[76:77], v[62:63]
	v_cndmask_b32_e32 v7, 0, v70, vcc
	v_add_f64 v[64:65], v[64:65], v[6:7]
	v_add_f64 v[72:73], v[78:79], v[64:65]
	v_cvt_i32_f64_e32 v7, v[72:73]
	v_cvt_f64_i32_e32 v[72:73], v7
	v_add_f64 v[64:65], v[64:65], -v[72:73]
	v_add_f64 v[72:73], v[78:79], v[64:65]
	v_add_f64 v[64:65], v[72:73], -v[64:65]
	v_cmp_le_f64_e32 vcc, 0.5, v[72:73]
	v_add_f64 v[64:65], v[78:79], -v[64:65]
	v_add_f64 v[62:63], v[62:63], v[64:65]
	v_addc_co_u32_e64 v71, s[0:1], 0, v7, vcc
	v_cndmask_b32_e32 v7, 0, v67, vcc
	v_add_f64 v[64:65], v[72:73], -v[6:7]
	v_add_f64 v[72:73], v[64:65], v[62:63]
	v_add_f64 v[64:65], v[72:73], -v[64:65]
	s_mov_b32 s40, s42
	v_add_f64 v[62:63], v[62:63], -v[64:65]
	v_mul_f64 v[64:65], v[72:73], s[40:41]
	v_fma_f64 v[74:75], v[72:73], s[40:41], -v[64:65]
	s_mov_b32 s47, s45
	v_fmac_f64_e32 v[74:75], s[46:47], v[72:73]
	v_fmac_f64_e32 v[74:75], s[40:41], v[62:63]
	v_add_f64 v[62:63], v[64:65], v[74:75]
	v_add_f64 v[64:65], v[62:63], -v[64:65]
	v_add_f64 v[64:65], v[74:75], -v[64:65]
.LBB2_6:                                ;   in Loop: Header=BB2_4 Depth=1
	s_andn2_saveexec_b64 s[0:1], s[2:3]
	s_cbranch_execz .LBB2_3
; %bb.7:                                ;   in Loop: Header=BB2_4 Depth=1
	v_mul_f64 v[62:63], |v[60:61]|, s[48:49]
	v_rndne_f64_e32 v[72:73], v[62:63]
	v_fma_f64 v[62:63], v[72:73], s[42:43], |v[60:61]|
	v_mul_f64 v[74:75], v[72:73], s[50:51]
	v_add_f64 v[78:79], v[62:63], v[74:75]
	v_fma_f64 v[64:65], s[50:51], v[72:73], v[62:63]
	s_mov_b32 s44, s50
	v_add_f64 v[62:63], v[62:63], -v[78:79]
	v_fma_f64 v[76:77], s[44:45], v[72:73], v[74:75]
	v_add_f64 v[62:63], v[62:63], v[74:75]
	v_add_f64 v[74:75], v[78:79], -v[64:65]
	v_add_f64 v[62:63], v[74:75], v[62:63]
	v_add_f64 v[74:75], v[62:63], -v[76:77]
	v_fmac_f64_e32 v[74:75], s[52:53], v[72:73]
	v_add_f64 v[62:63], v[64:65], v[74:75]
	v_add_f64 v[64:65], v[62:63], -v[64:65]
	v_add_f64 v[64:65], v[74:75], -v[64:65]
	v_cvt_i32_f64_e32 v71, v[72:73]
	s_branch .LBB2_3
.LBB2_8:
	s_or_b64 exec, exec, s[6:7]
	v_cvt_f64_i32_e32 v[0:1], s33
	v_cmp_eq_f64_e32 vcc, v[4:5], v[0:1]
	s_and_saveexec_b64 s[0:1], vcc
	s_cbranch_execz .LBB2_10
; %bb.9:
	global_store_dwordx2 v[2:3], v[4:5], off
.LBB2_10:
	s_endpgm
	.section	.rodata,"a",@progbits
	.p2align	6, 0x0
	.amdhsa_kernel _Z8ldsboundiPd
		.amdhsa_group_segment_fixed_size 65536
		.amdhsa_private_segment_fixed_size 0
		.amdhsa_kernarg_size 272
		.amdhsa_user_sgpr_count 2
		.amdhsa_user_sgpr_dispatch_ptr 0
		.amdhsa_user_sgpr_queue_ptr 0
		.amdhsa_user_sgpr_kernarg_segment_ptr 1
		.amdhsa_user_sgpr_dispatch_id 0
		.amdhsa_user_sgpr_kernarg_preload_length 0
		.amdhsa_user_sgpr_kernarg_preload_offset 0
		.amdhsa_user_sgpr_private_segment_size 0
		.amdhsa_uses_dynamic_stack 0
		.amdhsa_enable_private_segment 0
		.amdhsa_system_sgpr_workgroup_id_x 1
		.amdhsa_system_sgpr_workgroup_id_y 0
		.amdhsa_system_sgpr_workgroup_id_z 0
		.amdhsa_system_sgpr_workgroup_info 0
		.amdhsa_system_vgpr_workitem_id 0
		.amdhsa_next_free_vgpr 169
		.amdhsa_next_free_sgpr 96
		.amdhsa_accum_offset 92
		.amdhsa_reserve_vcc 1
		.amdhsa_float_round_mode_32 0
		.amdhsa_float_round_mode_16_64 0
		.amdhsa_float_denorm_mode_32 3
		.amdhsa_float_denorm_mode_16_64 3
		.amdhsa_dx10_clamp 1
		.amdhsa_ieee_mode 1
		.amdhsa_fp16_overflow 0
		.amdhsa_tg_split 0
		.amdhsa_exception_fp_ieee_invalid_op 0
		.amdhsa_exception_fp_denorm_src 0
		.amdhsa_exception_fp_ieee_div_zero 0
		.amdhsa_exception_fp_ieee_overflow 0
		.amdhsa_exception_fp_ieee_underflow 0
		.amdhsa_exception_fp_ieee_inexact 0
		.amdhsa_exception_int_div_zero 0
	.end_amdhsa_kernel
	.text
.Lfunc_end2:
	.size	_Z8ldsboundiPd, .Lfunc_end2-_Z8ldsboundiPd
                                        ; -- End function
	.set _Z8ldsboundiPd.num_vgpr, 92
	.set _Z8ldsboundiPd.num_agpr, 0
	.set _Z8ldsboundiPd.numbered_sgpr, 70
	.set _Z8ldsboundiPd.num_named_barrier, 0
	.set _Z8ldsboundiPd.private_seg_size, 0
	.set _Z8ldsboundiPd.uses_vcc, 1
	.set _Z8ldsboundiPd.uses_flat_scratch, 0
	.set _Z8ldsboundiPd.has_dyn_sized_stack, 0
	.set _Z8ldsboundiPd.has_recursion, 0
	.set _Z8ldsboundiPd.has_indirect_call, 0
	.section	.AMDGPU.csdata,"",@progbits
; Kernel info:
; codeLenInByte = 3404
; TotalNumSgprs: 76
; NumVgprs: 92
; NumAgprs: 0
; TotalNumVgprs: 92
; ScratchSize: 0
; MemoryBound: 0
; FloatMode: 240
; IeeeMode: 1
; LDSByteSize: 65536 bytes/workgroup (compile time only)
; SGPRBlocks: 12
; VGPRBlocks: 21
; NumSGPRsForWavesPerEU: 102
; NumVGPRsForWavesPerEU: 169
; AccumOffset: 92
; Occupancy: 2
; WaveLimiterHint : 0
; COMPUTE_PGM_RSRC2:SCRATCH_EN: 0
; COMPUTE_PGM_RSRC2:USER_SGPR: 2
; COMPUTE_PGM_RSRC2:TRAP_HANDLER: 0
; COMPUTE_PGM_RSRC2:TGID_X_EN: 1
; COMPUTE_PGM_RSRC2:TGID_Y_EN: 0
; COMPUTE_PGM_RSRC2:TGID_Z_EN: 0
; COMPUTE_PGM_RSRC2:TIDIG_COMP_CNT: 0
; COMPUTE_PGM_RSRC3_GFX90A:ACCUM_OFFSET: 22
; COMPUTE_PGM_RSRC3_GFX90A:TG_SPLIT: 0
	.text
	.protected	_Z9sgprboundiPd         ; -- Begin function _Z9sgprboundiPd
	.globl	_Z9sgprboundiPd
	.p2align	8
	.type	_Z9sgprboundiPd,@function
_Z9sgprboundiPd:                        ; @_Z9sgprboundiPd
; %bb.0:
	s_load_dwordx2 s[6:7], s[0:1], 0x8
	v_mov_b32_e32 v2, 0x9037ab78
	v_mov_b32_e32 v3, 0x3e21eeb6
	scratch_store_dwordx2 off, v[2:3], off  ; 8-byte Folded Spill
	v_mov_b32_e32 v2, 0xa17f65f6
	s_waitcnt lgkmcnt(0)
	s_load_dwordx2 s[2:3], s[6:7], 0x0
	v_mov_b32_e32 v3, 0xbe927e4f
	scratch_store_dwordx2 off, v[2:3], off offset:8 ; 8-byte Folded Spill
	v_mov_b32_e32 v2, 0x19f4ec90
	v_mov_b32_e32 v3, 0x3efa01a0
	scratch_store_dwordx2 off, v[2:3], off offset:16 ; 8-byte Folded Spill
	v_mov_b32_e32 v2, 0x16c16967
	;; [unrolled: 3-line block ×3, first 2 shown]
	v_mov_b32_e32 v3, 0xbe5ae600
	s_mov_b32 s10, 0x55555555
	s_mov_b32 s12, 0x55555555
	;; [unrolled: 1-line block ×10, first 2 shown]
	v_mov_b32_e32 v45, 0x3f811111
	v_mov_b32_e32 v49, 0x3fa55555
	s_mov_b32 s36, 0
	s_mov_b32 s38, 0
	;; [unrolled: 1-line block ×10, first 2 shown]
	scratch_store_dwordx2 off, v[2:3], off offset:32 ; 8-byte Folded Spill
	v_mov_b32_e32 v2, 0x796cde01
	v_mov_b32_e32 v3, 0x3ec71de3
	s_movk_i32 s33, 0x64
	v_mov_b64_e32 v[54:55], 0
	v_mov_b32_e32 v52, 0x3ff00000
	s_mov_b32 s8, 0
	s_mov_b32 s11, 0x3fe55555
	;; [unrolled: 1-line block ×3, first 2 shown]
	v_mov_b32_e32 v16, 0x968915a9
	s_waitcnt lgkmcnt(0)
	v_mov_b64_e32 v[0:1], s[2:3]
	v_mov_b32_e32 v17, 0x3fba6564
	s_mov_b32 s15, 0x3fbdee67
	v_mov_b32_e32 v18, 0x3abe935a
	v_mov_b32_e32 v19, 0x3fbe25e4
	;; [unrolled: 1-line block ×14, first 2 shown]
	s_mov_b32 s17, 0x3fe62e42
	s_mov_b32 s19, 0x3c7abc9e
	;; [unrolled: 1-line block ×4, first 2 shown]
	s_movk_i32 s62, 0x204
	s_mov_b32 s25, 0x7ff00000
	s_mov_b32 s27, 0x3ff71547
	;; [unrolled: 1-line block ×6, first 2 shown]
	v_mov_b32_e32 v36, 0xfca7ab0c
	v_mov_b32_e32 v37, 0x3e928af3
	s_mov_b32 s35, 0x3e5ade15
	v_mov_b32_e32 v30, 0x623fde64
	v_mov_b32_e32 v31, 0x3ec71dee
	;; [unrolled: 1-line block ×16, first 2 shown]
	s_mov_b32 s37, 0x40900000
	s_mov_b32 s39, 0xc090cc00
	s_brev_b32 s63, -2
	v_mov_b32_e32 v53, 0x7ff80000
	s_mov_b32 s41, 0x41d00000
	s_mov_b32 s43, 0x7b000000
	s_movk_i32 s64, 0xff80
	s_mov_b32 s45, 0x3ff921fb
	s_mov_b32 s47, 0xbff921fb
	;; [unrolled: 1-line block ×9, first 2 shown]
	s_movk_i32 s65, 0x1f8
	v_mov_b32_e32 v48, 0x55555555
	scratch_store_dwordx2 off, v[2:3], off offset:40 ; 8-byte Folded Spill
	v_mov_b32_e32 v2, 0x19e83e5c
	v_mov_b32_e32 v3, 0xbf2a01a0
	;; [unrolled: 1-line block ×3, first 2 shown]
	scratch_store_dwordx2 off, v[2:3], off offset:48 ; 8-byte Folded Spill
.LBB3_1:                                ; =>This Inner Loop Header: Depth=1
	v_cmp_neq_f64_e32 vcc, 0, v[54:55]
	v_cmp_neq_f64_e64 s[4:5], v[54:55], |v[54:55]|
	s_nop 0
	v_cndmask_b32_e32 v57, v52, v55, vcc
	v_cndmask_b32_e32 v56, 0, v54, vcc
	v_frexp_mant_f64_e64 v[58:59], |v[56:57]|
	v_cmp_gt_f64_e32 vcc, s[10:11], v[58:59]
	v_cmp_lt_f64_e64 s[66:67], |v[56:57]|, 1.0
	s_xor_b64 s[4:5], s[4:5], s[66:67]
	v_cndmask_b32_e64 v2, 0, 1, vcc
	v_ldexp_f64 v[58:59], v[58:59], v2
	v_add_f64 v[60:61], v[58:59], 1.0
	v_rcp_f64_e32 v[2:3], v[60:61]
	v_add_f64 v[6:7], v[60:61], -1.0
	v_add_f64 v[4:5], v[58:59], -1.0
	v_add_f64 v[6:7], v[58:59], -v[6:7]
	v_fma_f64 v[58:59], -v[60:61], v[2:3], 1.0
	v_fmac_f64_e32 v[2:3], v[58:59], v[2:3]
	v_fma_f64 v[58:59], -v[60:61], v[2:3], 1.0
	v_fmac_f64_e32 v[2:3], v[58:59], v[2:3]
	v_mul_f64 v[58:59], v[4:5], v[2:3]
	v_mul_f64 v[8:9], v[60:61], v[58:59]
	v_fma_f64 v[60:61], v[58:59], v[60:61], -v[8:9]
	v_fmac_f64_e32 v[60:61], v[58:59], v[6:7]
	v_add_f64 v[6:7], v[8:9], v[60:61]
	v_add_f64 v[10:11], v[4:5], -v[6:7]
	v_add_f64 v[8:9], v[6:7], -v[8:9]
	;; [unrolled: 1-line block ×5, first 2 shown]
	v_add_f64 v[4:5], v[6:7], v[4:5]
	v_add_f64 v[4:5], v[10:11], v[4:5]
	v_mul_f64 v[2:3], v[2:3], v[4:5]
	v_add_f64 v[60:61], v[58:59], v[2:3]
	v_add_f64 v[4:5], v[60:61], -v[58:59]
	v_add_f64 v[58:59], v[2:3], -v[4:5]
	v_mul_f64 v[2:3], v[60:61], v[60:61]
	v_fma_f64 v[4:5], v[60:61], v[60:61], -v[2:3]
	v_add_f64 v[6:7], v[58:59], v[58:59]
	v_fmac_f64_e32 v[4:5], v[60:61], v[6:7]
	v_add_f64 v[6:7], v[2:3], v[4:5]
	v_add_f64 v[2:3], v[6:7], -v[2:3]
	v_add_f64 v[2:3], v[4:5], -v[2:3]
	v_fma_f64 v[4:5], s[14:15], v[6:7], v[16:17]
	v_fma_f64 v[4:5], v[6:7], v[4:5], v[18:19]
	;; [unrolled: 1-line block ×8, first 2 shown]
	v_mul_f64 v[8:9], v[60:61], v[6:7]
	v_fma_f64 v[10:11], v[6:7], v[60:61], -v[8:9]
	v_mul_f64 v[12:13], v[6:7], v[4:5]
	v_fmac_f64_e32 v[10:11], v[6:7], v[58:59]
	v_fma_f64 v[6:7], v[6:7], v[4:5], -v[12:13]
	v_fmac_f64_e32 v[6:7], v[2:3], v[4:5]
	v_fmac_f64_e32 v[10:11], v[2:3], v[60:61]
	v_add_f64 v[2:3], v[12:13], v[6:7]
	v_add_f64 v[4:5], v[2:3], -v[12:13]
	v_add_f64 v[4:5], v[6:7], -v[4:5]
	v_add_f64 v[6:7], v[2:3], s[10:11]
	v_add_f64 v[12:13], v[6:7], s[20:21]
	v_add_f64 v[2:3], v[2:3], -v[12:13]
	v_add_f64 v[4:5], v[4:5], s[22:23]
	v_add_f64 v[2:3], v[4:5], v[2:3]
	;; [unrolled: 1-line block ×3, first 2 shown]
	v_add_f64 v[6:7], v[6:7], -v[4:5]
	v_add_f64 v[2:3], v[2:3], v[6:7]
	v_add_f64 v[6:7], v[8:9], v[10:11]
	v_mul_f64 v[12:13], v[6:7], v[4:5]
	v_fma_f64 v[14:15], v[6:7], v[4:5], -v[12:13]
	v_fmac_f64_e32 v[14:15], v[6:7], v[2:3]
	v_add_f64 v[2:3], v[6:7], -v[8:9]
	v_add_f64 v[2:3], v[10:11], -v[2:3]
	v_fmac_f64_e32 v[14:15], v[2:3], v[4:5]
	v_frexp_exp_i32_f64_e32 v2, v[56:57]
	v_subbrev_co_u32_e32 v2, vcc, 0, v2, vcc
	v_cvt_f64_i32_e32 v[2:3], v2
	v_mul_f64 v[4:5], v[2:3], s[16:17]
	v_fma_f64 v[6:7], v[2:3], s[16:17], -v[4:5]
	v_fmac_f64_e32 v[6:7], s[18:19], v[2:3]
	v_add_f64 v[2:3], v[4:5], v[6:7]
	v_add_f64 v[4:5], v[2:3], -v[4:5]
	v_add_f64 v[4:5], v[6:7], -v[4:5]
	v_add_f64 v[6:7], v[12:13], v[14:15]
	v_ldexp_f64 v[10:11], v[60:61], 1
	v_add_f64 v[8:9], v[6:7], -v[12:13]
	v_add_f64 v[12:13], v[10:11], v[6:7]
	v_add_f64 v[10:11], v[12:13], -v[10:11]
	v_add_f64 v[8:9], v[14:15], -v[8:9]
	v_add_f64 v[6:7], v[6:7], -v[10:11]
	v_ldexp_f64 v[10:11], v[58:59], 1
	v_add_f64 v[8:9], v[10:11], v[8:9]
	v_add_f64 v[6:7], v[8:9], v[6:7]
	;; [unrolled: 1-line block ×3, first 2 shown]
	v_add_f64 v[10:11], v[8:9], -v[12:13]
	v_add_f64 v[6:7], v[6:7], -v[10:11]
	v_add_f64 v[10:11], v[2:3], v[8:9]
	v_add_f64 v[12:13], v[10:11], -v[2:3]
	v_add_f64 v[14:15], v[10:11], -v[12:13]
	;; [unrolled: 1-line block ×4, first 2 shown]
	v_add_f64 v[2:3], v[8:9], v[2:3]
	v_add_f64 v[8:9], v[4:5], v[6:7]
	v_add_f64 v[12:13], v[8:9], -v[4:5]
	v_add_f64 v[14:15], v[8:9], -v[12:13]
	;; [unrolled: 1-line block ×4, first 2 shown]
	v_add_f64 v[2:3], v[8:9], v[2:3]
	v_add_f64 v[4:5], v[6:7], v[4:5]
	;; [unrolled: 1-line block ×3, first 2 shown]
	v_add_f64 v[8:9], v[6:7], -v[10:11]
	v_add_f64 v[2:3], v[2:3], -v[8:9]
	v_add_f64 v[2:3], v[4:5], v[2:3]
	v_add_f64 v[4:5], v[6:7], v[2:3]
	v_add_f64 v[6:7], v[4:5], -v[6:7]
	v_add_f64 v[2:3], v[2:3], -v[6:7]
	v_mul_f64 v[6:7], v[54:55], v[4:5]
	v_fma_f64 v[4:5], v[54:55], v[4:5], -v[6:7]
	v_fmac_f64_e32 v[4:5], v[54:55], v[2:3]
	v_add_f64 v[2:3], v[6:7], v[4:5]
	v_cmp_class_f64_e64 vcc, v[6:7], s62
	v_add_f64 v[8:9], v[2:3], -v[6:7]
	v_add_f64 v[4:5], v[4:5], -v[8:9]
	v_cndmask_b32_e32 v3, v3, v7, vcc
	v_cndmask_b32_e32 v2, v2, v6, vcc
	v_mul_f64 v[6:7], v[2:3], s[26:27]
	v_rndne_f64_e32 v[6:7], v[6:7]
	v_fma_f64 v[8:9], s[28:29], v[6:7], v[2:3]
	v_fmac_f64_e32 v[8:9], s[30:31], v[6:7]
	v_fma_f64 v[10:11], s[34:35], v[8:9], v[36:37]
	v_fma_f64 v[10:11], v[8:9], v[10:11], v[30:31]
	;; [unrolled: 1-line block ×9, first 2 shown]
	v_fma_f64 v[10:11], v[8:9], v[10:11], 1.0
	v_cmp_neq_f64_e64 vcc, |v[2:3]|, s[24:25]
	v_fma_f64 v[8:9], v[8:9], v[10:11], 1.0
	v_cvt_i32_f64_e32 v6, v[6:7]
	v_cndmask_b32_e32 v5, 0, v5, vcc
	v_cndmask_b32_e32 v4, 0, v4, vcc
	v_ldexp_f64 v[6:7], v[8:9], v6
	v_cmp_nlt_f64_e32 vcc, s[36:37], v[2:3]
	v_mov_b32_e32 v8, 0x7ff00000
	v_cmp_ngt_f64_e64 s[2:3], s[38:39], v[2:3]
	v_cndmask_b32_e32 v7, v8, v7, vcc
	s_and_b64 vcc, s[2:3], vcc
	v_cndmask_b32_e64 v3, 0, v7, s[2:3]
	v_cndmask_b32_e32 v2, 0, v6, vcc
	v_mov_b64_e32 v[6:7], v[2:3]
	v_fmac_f64_e32 v[6:7], v[6:7], v[4:5]
	v_cmp_class_f64_e64 vcc, v[2:3], s62
	s_nop 1
	v_cndmask_b32_e32 v6, v6, v2, vcc
	v_cndmask_b32_e32 v7, v7, v3, vcc
	v_trunc_f64_e32 v[2:3], v[54:55]
	v_cmp_eq_f64_e32 vcc, v[2:3], v[54:55]
	v_mul_f64 v[2:3], v[54:55], 0.5
	v_trunc_f64_e32 v[4:5], v[2:3]
	v_cmp_neq_f64_e64 s[2:3], v[4:5], v[2:3]
	s_and_b64 s[2:3], vcc, s[2:3]
	s_and_b64 s[4:5], s[4:5], exec
	v_cndmask_b32_e64 v2, v52, v57, s[2:3]
	v_cmp_neq_f64_e64 s[4:5], |v[56:57]|, 1.0
	v_bfi_b32 v2, s63, v7, v2
	s_cselect_b32 s9, 0, 0x7ff00000
	s_and_b64 s[4:5], s[4:5], exec
	v_cndmask_b32_e32 v3, v53, v2, vcc
	v_cndmask_b32_e32 v4, 0, v6, vcc
	v_cmp_gt_f64_e32 vcc, 0, v[56:57]
	s_cselect_b32 s4, s9, 0x3ff00000
	s_nop 0
	v_cndmask_b32_e32 v2, v2, v3, vcc
	v_mov_b32_e32 v3, s4
	v_cmp_gt_f64_e64 s[4:5], 0, v[54:55]
	s_and_b64 s[4:5], s[4:5], exec
	v_cndmask_b32_e32 v4, v6, v4, vcc
	v_cmp_class_f64_e64 vcc, v[54:55], s62
	s_cselect_b32 s4, 0, 0x7ff00000
	v_mov_b32_e32 v5, s4
	v_cndmask_b32_e32 v2, v2, v3, vcc
	v_cndmask_b32_e64 v3, 0, v57, s[2:3]
	v_bfi_b32 v3, s63, v5, v3
	v_cmp_class_f64_e64 s[2:3], v[56:57], s62
	s_nop 1
	v_cndmask_b32_e64 v2, v2, v3, s[2:3]
	s_or_b64 s[2:3], s[2:3], vcc
	v_cndmask_b32_e64 v3, v4, 0, s[2:3]
	v_cmp_o_f64_e32 vcc, v[56:57], v[54:55]
	s_nop 1
	v_cndmask_b32_e32 v54, 0, v3, vcc
	v_cndmask_b32_e32 v55, v53, v2, vcc
	v_cmp_nlt_f64_e64 s[2:3], |v[54:55]|, s[40:41]
	s_and_b64 vcc, exec, s[2:3]
	s_cbranch_vccz .LBB3_3
; %bb.2:                                ;   in Loop: Header=BB3_1 Depth=1
	v_and_b32_e32 v8, 0x7fffffff, v55
	v_ldexp_f64 v[6:7], |v[54:55]|, s64
	v_cmp_ge_f64_e64 vcc, |v[54:55]|, s[42:43]
	v_trig_preop_f64 v[2:3], |v[54:55]|, 0
	v_trig_preop_f64 v[4:5], |v[54:55]|, 1
	v_cndmask_b32_e32 v7, v8, v7, vcc
	v_cndmask_b32_e32 v6, v54, v6, vcc
	v_mul_f64 v[10:11], v[2:3], v[6:7]
	v_mul_f64 v[8:9], v[4:5], v[6:7]
	v_fma_f64 v[2:3], v[2:3], v[6:7], -v[10:11]
	v_add_f64 v[12:13], v[8:9], v[2:3]
	v_add_f64 v[60:61], v[12:13], -v[8:9]
	v_add_f64 v[2:3], v[2:3], -v[60:61]
	;; [unrolled: 1-line block ×4, first 2 shown]
	v_fma_f64 v[4:5], v[4:5], v[6:7], -v[8:9]
	v_trig_preop_f64 v[8:9], |v[54:55]|, 2
	v_add_f64 v[2:3], v[2:3], v[60:61]
	v_mul_f64 v[60:61], v[8:9], v[6:7]
	v_mov_b64_e32 v[58:59], v[62:63]
	v_mov_b64_e32 v[62:63], v[50:51]
	;; [unrolled: 1-line block ×10, first 2 shown]
	v_add_f64 v[16:17], v[60:61], v[4:5]
	v_add_f64 v[14:15], v[10:11], v[12:13]
	v_mov_b64_e32 v[8:9], v[22:23]
	v_mov_b64_e32 v[22:23], v[18:19]
	v_add_f64 v[18:19], v[16:17], v[2:3]
	v_ldexp_f64 v[56:57], v[14:15], -2
	v_add_f64 v[10:11], v[14:15], -v[10:11]
	v_add_f64 v[14:15], v[18:19], -v[16:17]
	;; [unrolled: 1-line block ×5, first 2 shown]
	v_add_f64 v[2:3], v[2:3], v[14:15]
	v_add_f64 v[14:15], v[16:17], -v[60:61]
	v_add_f64 v[4:5], v[4:5], -v[14:15]
	;; [unrolled: 1-line block ×4, first 2 shown]
	v_add_f64 v[4:5], v[4:5], v[14:15]
	v_add_f64 v[2:3], v[4:5], v[2:3]
	v_trig_preop_f64 v[4:5], |v[54:55]|, 2
	v_fma_f64 v[4:5], v[4:5], v[6:7], -v[60:61]
	v_add_f64 v[2:3], v[4:5], v[2:3]
	v_fract_f64_e32 v[4:5], v[56:57]
	v_add_f64 v[10:11], v[12:13], -v[10:11]
	v_ldexp_f64 v[4:5], v[4:5], 2
	v_cmp_neq_f64_e64 vcc, |v[56:57]|, s[24:25]
	v_add_f64 v[12:13], v[10:11], v[18:19]
	v_add_f64 v[10:11], v[12:13], -v[10:11]
	v_cndmask_b32_e32 v5, 0, v5, vcc
	v_cndmask_b32_e32 v4, 0, v4, vcc
	v_add_f64 v[6:7], v[12:13], v[4:5]
	v_cmp_gt_f64_e32 vcc, 0, v[6:7]
	s_and_b64 s[2:3], vcc, exec
	s_cselect_b32 s9, 0x40100000, 0
	v_add_f64 v[4:5], v[4:5], s[8:9]
	v_add_f64 v[6:7], v[12:13], v[4:5]
	v_add_f64 v[10:11], v[18:19], -v[10:11]
	v_mov_b64_e32 v[18:19], v[22:23]
	v_mov_b64_e32 v[22:23], v[8:9]
	v_cvt_i32_f64_e32 v8, v[6:7]
	v_cvt_f64_i32_e32 v[6:7], v8
	v_add_f64 v[4:5], v[4:5], -v[6:7]
	v_add_f64 v[6:7], v[12:13], v[4:5]
	v_cmp_le_f64_e32 vcc, 0.5, v[6:7]
	v_add_f64 v[4:5], v[6:7], -v[4:5]
	s_and_b64 s[2:3], vcc, exec
	v_add_f64 v[2:3], v[10:11], v[2:3]
	v_add_f64 v[4:5], v[12:13], -v[4:5]
	s_cselect_b32 s9, 0x3ff00000, 0
	v_add_f64 v[2:3], v[2:3], v[4:5]
	v_add_f64 v[4:5], v[6:7], -s[8:9]
	v_add_f64 v[6:7], v[4:5], v[2:3]
	v_add_f64 v[4:5], v[6:7], -v[4:5]
	s_mov_b32 s44, s46
	v_add_f64 v[2:3], v[2:3], -v[4:5]
	v_mul_f64 v[4:5], v[6:7], s[44:45]
	v_addc_co_u32_e64 v60, s[2:3], 0, v8, vcc
	v_fma_f64 v[8:9], v[6:7], s[44:45], -v[4:5]
	s_mov_b32 s51, s49
	v_fmac_f64_e32 v[8:9], s[50:51], v[6:7]
	v_fmac_f64_e32 v[8:9], s[44:45], v[2:3]
	v_add_f64 v[56:57], v[4:5], v[8:9]
	v_add_f64 v[2:3], v[56:57], -v[4:5]
	v_mov_b64_e32 v[16:17], v[20:21]
	v_mov_b64_e32 v[20:21], v[24:25]
	;; [unrolled: 1-line block ×10, first 2 shown]
	v_add_f64 v[58:59], v[8:9], -v[2:3]
	s_cbranch_execz .LBB3_4
	s_branch .LBB3_5
.LBB3_3:                                ;   in Loop: Header=BB3_1 Depth=1
                                        ; implicit-def: $vgpr60
                                        ; implicit-def: $vgpr56_vgpr57
                                        ; implicit-def: $vgpr58_vgpr59
.LBB3_4:                                ;   in Loop: Header=BB3_1 Depth=1
	v_mul_f64 v[2:3], |v[54:55]|, s[52:53]
	v_rndne_f64_e32 v[2:3], v[2:3]
	v_fma_f64 v[4:5], v[2:3], s[46:47], |v[54:55]|
	v_mul_f64 v[8:9], v[2:3], s[54:55]
	v_add_f64 v[12:13], v[4:5], v[8:9]
	v_fma_f64 v[6:7], s[54:55], v[2:3], v[4:5]
	s_mov_b32 s48, s54
	v_add_f64 v[4:5], v[4:5], -v[12:13]
	v_fma_f64 v[10:11], s[48:49], v[2:3], v[8:9]
	v_add_f64 v[4:5], v[4:5], v[8:9]
	v_add_f64 v[8:9], v[12:13], -v[6:7]
	v_add_f64 v[4:5], v[8:9], v[4:5]
	v_add_f64 v[4:5], v[4:5], -v[10:11]
	v_fmac_f64_e32 v[4:5], s[56:57], v[2:3]
	v_add_f64 v[56:57], v[6:7], v[4:5]
	v_add_f64 v[6:7], v[56:57], -v[6:7]
	v_add_f64 v[58:59], v[4:5], -v[6:7]
	v_cvt_i32_f64_e32 v60, v[2:3]
.LBB3_5:                                ;   in Loop: Header=BB3_1 Depth=1
	scratch_load_dwordx2 v[10:11], off, off ; 8-byte Folded Reload
	scratch_load_dwordx2 v[12:13], off, off offset:8 ; 8-byte Folded Reload
	v_mul_f64 v[2:3], v[56:57], v[56:57]
	v_mul_f64 v[4:5], v[2:3], 0.5
	v_add_f64 v[6:7], -v[4:5], 1.0
	v_add_f64 v[8:9], -v[6:7], 1.0
	v_add_f64 v[4:5], v[8:9], -v[4:5]
	v_mul_f64 v[8:9], v[2:3], v[2:3]
	v_fma_f64 v[4:5], v[56:57], -v[58:59], v[4:5]
	s_add_i32 s33, s33, -1
	s_cmp_eq_u32 s33, 0
	s_waitcnt vmcnt(1)
	v_fmac_f64_e32 v[10:11], s[58:59], v[2:3]
	s_waitcnt vmcnt(0)
	v_fmac_f64_e32 v[12:13], v[2:3], v[10:11]
	scratch_load_dwordx2 v[10:11], off, off offset:16 ; 8-byte Folded Reload
	s_waitcnt vmcnt(0)
	v_fmac_f64_e32 v[10:11], v[2:3], v[12:13]
	scratch_load_dwordx2 v[12:13], off, off offset:24 ; 8-byte Folded Reload
	s_waitcnt vmcnt(0)
	v_fmac_f64_e32 v[12:13], v[2:3], v[10:11]
	v_mov_b64_e32 v[10:11], v[48:49]
	v_fmac_f64_e32 v[10:11], v[2:3], v[12:13]
	v_fmac_f64_e32 v[4:5], v[8:9], v[10:11]
	v_add_f64 v[4:5], v[6:7], v[4:5]
	scratch_load_dwordx2 v[6:7], off, off offset:32 ; 8-byte Folded Reload
	scratch_load_dwordx2 v[8:9], off, off offset:40 ; 8-byte Folded Reload
	v_mul_f64 v[10:11], v[58:59], 0.5
	s_waitcnt vmcnt(1)
	v_fmac_f64_e32 v[6:7], s[60:61], v[2:3]
	s_waitcnt vmcnt(0)
	v_fmac_f64_e32 v[8:9], v[2:3], v[6:7]
	scratch_load_dwordx2 v[6:7], off, off offset:48 ; 8-byte Folded Reload
	s_waitcnt vmcnt(0)
	v_fmac_f64_e32 v[6:7], v[2:3], v[8:9]
	v_mov_b64_e32 v[8:9], v[44:45]
	v_fmac_f64_e32 v[8:9], v[2:3], v[6:7]
	v_mul_f64 v[6:7], v[56:57], -v[2:3]
	v_fmac_f64_e32 v[10:11], v[6:7], v[8:9]
	v_fma_f64 v[2:3], v[2:3], v[10:11], -v[58:59]
	v_fmac_f64_e32 v[2:3], s[12:13], v[6:7]
	v_and_b32_e32 v6, 1, v60
	v_add_f64 v[2:3], v[56:57], -v[2:3]
	v_cmp_eq_u32_e32 vcc, 0, v6
	s_nop 1
	v_cndmask_b32_e32 v2, v4, v2, vcc
	v_lshlrev_b32_e32 v4, 30, v60
	v_xor_b32_e32 v4, v4, v55
	v_cndmask_b32_e32 v3, v5, v3, vcc
	v_and_b32_e32 v4, 0x80000000, v4
	v_xor_b32_e32 v3, v3, v4
	v_cmp_class_f64_e64 vcc, v[54:55], s65
	s_nop 1
	v_cndmask_b32_e32 v2, 0, v2, vcc
	v_cndmask_b32_e32 v3, v53, v3, vcc
	v_add_f64 v[0:1], v[0:1], v[2:3]
	s_cbranch_scc1 .LBB3_7
; %bb.6:                                ;   in Loop: Header=BB3_1 Depth=1
	v_mov_b64_e32 v[54:55], v[0:1]
	s_branch .LBB3_1
.LBB3_7:
	s_load_dword s0, s[0:1], 0x0
	s_waitcnt lgkmcnt(0)
	v_cvt_f64_i32_e32 v[2:3], s0
	v_cmp_eq_f64_e32 vcc, v[0:1], v[2:3]
	s_cbranch_vccz .LBB3_9
; %bb.8:
	v_mov_b32_e32 v2, 0
	global_store_dwordx2 v2, v[0:1], s[6:7]
.LBB3_9:
	s_endpgm
	.section	.rodata,"a",@progbits
	.p2align	6, 0x0
	.amdhsa_kernel _Z9sgprboundiPd
		.amdhsa_group_segment_fixed_size 0
		.amdhsa_private_segment_fixed_size 60
		.amdhsa_kernarg_size 16
		.amdhsa_user_sgpr_count 2
		.amdhsa_user_sgpr_dispatch_ptr 0
		.amdhsa_user_sgpr_queue_ptr 0
		.amdhsa_user_sgpr_kernarg_segment_ptr 1
		.amdhsa_user_sgpr_dispatch_id 0
		.amdhsa_user_sgpr_kernarg_preload_length 0
		.amdhsa_user_sgpr_kernarg_preload_offset 0
		.amdhsa_user_sgpr_private_segment_size 0
		.amdhsa_uses_dynamic_stack 0
		.amdhsa_enable_private_segment 1
		.amdhsa_system_sgpr_workgroup_id_x 1
		.amdhsa_system_sgpr_workgroup_id_y 0
		.amdhsa_system_sgpr_workgroup_id_z 0
		.amdhsa_system_sgpr_workgroup_info 0
		.amdhsa_system_vgpr_workitem_id 0
		.amdhsa_next_free_vgpr 64
		.amdhsa_next_free_sgpr 68
		.amdhsa_accum_offset 64
		.amdhsa_reserve_vcc 1
		.amdhsa_float_round_mode_32 0
		.amdhsa_float_round_mode_16_64 0
		.amdhsa_float_denorm_mode_32 3
		.amdhsa_float_denorm_mode_16_64 3
		.amdhsa_dx10_clamp 1
		.amdhsa_ieee_mode 1
		.amdhsa_fp16_overflow 0
		.amdhsa_tg_split 0
		.amdhsa_exception_fp_ieee_invalid_op 0
		.amdhsa_exception_fp_denorm_src 0
		.amdhsa_exception_fp_ieee_div_zero 0
		.amdhsa_exception_fp_ieee_overflow 0
		.amdhsa_exception_fp_ieee_underflow 0
		.amdhsa_exception_fp_ieee_inexact 0
		.amdhsa_exception_int_div_zero 0
	.end_amdhsa_kernel
	.text
.Lfunc_end3:
	.size	_Z9sgprboundiPd, .Lfunc_end3-_Z9sgprboundiPd
                                        ; -- End function
	.set _Z9sgprboundiPd.num_vgpr, 64
	.set _Z9sgprboundiPd.num_agpr, 0
	.set _Z9sgprboundiPd.numbered_sgpr, 68
	.set _Z9sgprboundiPd.num_named_barrier, 0
	.set _Z9sgprboundiPd.private_seg_size, 60
	.set _Z9sgprboundiPd.uses_vcc, 1
	.set _Z9sgprboundiPd.uses_flat_scratch, 0
	.set _Z9sgprboundiPd.has_dyn_sized_stack, 0
	.set _Z9sgprboundiPd.has_recursion, 0
	.set _Z9sgprboundiPd.has_indirect_call, 0
	.section	.AMDGPU.csdata,"",@progbits
; Kernel info:
; codeLenInByte = 3396
; TotalNumSgprs: 74
; NumVgprs: 64
; NumAgprs: 0
; TotalNumVgprs: 64
; ScratchSize: 60
; MemoryBound: 0
; FloatMode: 240
; IeeeMode: 1
; LDSByteSize: 0 bytes/workgroup (compile time only)
; SGPRBlocks: 9
; VGPRBlocks: 7
; NumSGPRsForWavesPerEU: 74
; NumVGPRsForWavesPerEU: 64
; AccumOffset: 64
; Occupancy: 8
; WaveLimiterHint : 0
; COMPUTE_PGM_RSRC2:SCRATCH_EN: 1
; COMPUTE_PGM_RSRC2:USER_SGPR: 2
; COMPUTE_PGM_RSRC2:TRAP_HANDLER: 0
; COMPUTE_PGM_RSRC2:TGID_X_EN: 1
; COMPUTE_PGM_RSRC2:TGID_Y_EN: 0
; COMPUTE_PGM_RSRC2:TGID_Z_EN: 0
; COMPUTE_PGM_RSRC2:TIDIG_COMP_CNT: 0
; COMPUTE_PGM_RSRC3_GFX90A:ACCUM_OFFSET: 15
; COMPUTE_PGM_RSRC3_GFX90A:TG_SPLIT: 0
	.text
	.p2alignl 6, 3212836864
	.fill 256, 4, 3212836864
	.section	.AMDGPU.gpr_maximums,"",@progbits
	.set amdgpu.max_num_vgpr, 0
	.set amdgpu.max_num_agpr, 0
	.set amdgpu.max_num_sgpr, 0
	.text
	.type	__hip_cuid_69df737ffa0eb696,@object ; @__hip_cuid_69df737ffa0eb696
	.section	.bss,"aw",@nobits
	.globl	__hip_cuid_69df737ffa0eb696
__hip_cuid_69df737ffa0eb696:
	.byte	0                               ; 0x0
	.size	__hip_cuid_69df737ffa0eb696, 1

	.ident	"AMD clang version 22.0.0git (https://github.com/RadeonOpenCompute/llvm-project roc-7.2.4 26084 f58b06dce1f9c15707c5f808fd002e18c2accf7e)"
	.section	".note.GNU-stack","",@progbits
	.addrsig
	.addrsig_sym __hip_cuid_69df737ffa0eb696
	.amdgpu_metadata
---
amdhsa.kernels:
  - .agpr_count:     0
    .args:
      - .offset:         0
        .size:           4
        .value_kind:     by_value
      - .address_space:  global
        .offset:         8
        .size:           8
        .value_kind:     global_buffer
    .group_segment_fixed_size: 0
    .kernarg_segment_align: 8
    .kernarg_segment_size: 16
    .language:       OpenCL C
    .language_version:
      - 2
      - 0
    .max_flat_workgroup_size: 1024
    .name:           _Z5emptyiPd
    .private_segment_fixed_size: 0
    .sgpr_count:     6
    .sgpr_spill_count: 0
    .symbol:         _Z5emptyiPd.kd
    .uniform_work_group_size: 1
    .uses_dynamic_stack: false
    .vgpr_count:     0
    .vgpr_spill_count: 0
    .wavefront_size: 64
  - .agpr_count:     0
    .args:
      - .offset:         0
        .size:           4
        .value_kind:     by_value
      - .address_space:  global
        .offset:         8
        .size:           8
        .value_kind:     global_buffer
    .group_segment_fixed_size: 0
    .kernarg_segment_align: 8
    .kernarg_segment_size: 16
    .language:       OpenCL C
    .language_version:
      - 2
      - 0
    .max_flat_workgroup_size: 256
    .name:           _Z9vgprboundiPd
    .private_segment_fixed_size: 0
    .sgpr_count:     74
    .sgpr_spill_count: 0
    .symbol:         _Z9vgprboundiPd.kd
    .uniform_work_group_size: 1
    .uses_dynamic_stack: false
    .vgpr_count:     122
    .vgpr_spill_count: 0
    .wavefront_size: 64
  - .agpr_count:     0
    .args:
      - .offset:         0
        .size:           4
        .value_kind:     by_value
      - .address_space:  global
        .offset:         8
        .size:           8
        .value_kind:     global_buffer
      - .offset:         16
        .size:           4
        .value_kind:     hidden_block_count_x
      - .offset:         20
        .size:           4
        .value_kind:     hidden_block_count_y
      - .offset:         24
        .size:           4
        .value_kind:     hidden_block_count_z
      - .offset:         28
        .size:           2
        .value_kind:     hidden_group_size_x
      - .offset:         30
        .size:           2
        .value_kind:     hidden_group_size_y
      - .offset:         32
        .size:           2
        .value_kind:     hidden_group_size_z
      - .offset:         34
        .size:           2
        .value_kind:     hidden_remainder_x
      - .offset:         36
        .size:           2
        .value_kind:     hidden_remainder_y
      - .offset:         38
        .size:           2
        .value_kind:     hidden_remainder_z
      - .offset:         56
        .size:           8
        .value_kind:     hidden_global_offset_x
      - .offset:         64
        .size:           8
        .value_kind:     hidden_global_offset_y
      - .offset:         72
        .size:           8
        .value_kind:     hidden_global_offset_z
      - .offset:         80
        .size:           2
        .value_kind:     hidden_grid_dims
    .group_segment_fixed_size: 65536
    .kernarg_segment_align: 8
    .kernarg_segment_size: 272
    .language:       OpenCL C
    .language_version:
      - 2
      - 0
    .max_flat_workgroup_size: 256
    .name:           _Z8ldsboundiPd
    .private_segment_fixed_size: 0
    .sgpr_count:     76
    .sgpr_spill_count: 0
    .symbol:         _Z8ldsboundiPd.kd
    .uniform_work_group_size: 1
    .uses_dynamic_stack: false
    .vgpr_count:     92
    .vgpr_spill_count: 0
    .wavefront_size: 64
  - .agpr_count:     0
    .args:
      - .offset:         0
        .size:           4
        .value_kind:     by_value
      - .address_space:  global
        .offset:         8
        .size:           8
        .value_kind:     global_buffer
    .group_segment_fixed_size: 0
    .kernarg_segment_align: 8
    .kernarg_segment_size: 16
    .language:       OpenCL C
    .language_version:
      - 2
      - 0
    .max_flat_workgroup_size: 1024
    .name:           _Z9sgprboundiPd
    .private_segment_fixed_size: 60
    .sgpr_count:     74
    .sgpr_spill_count: 0
    .symbol:         _Z9sgprboundiPd.kd
    .uniform_work_group_size: 1
    .uses_dynamic_stack: false
    .vgpr_count:     64
    .vgpr_spill_count: 14
    .wavefront_size: 64
amdhsa.target:   amdgcn-amd-amdhsa--gfx950
amdhsa.version:
  - 1
  - 2
...

	.end_amdgpu_metadata
